;; amdgpu-corpus repo=ROCm/rocFFT kind=compiled arch=gfx1030 opt=O3
	.text
	.amdgcn_target "amdgcn-amd-amdhsa--gfx1030"
	.amdhsa_code_object_version 6
	.protected	bluestein_single_fwd_len3456_dim1_half_op_CI_CI ; -- Begin function bluestein_single_fwd_len3456_dim1_half_op_CI_CI
	.globl	bluestein_single_fwd_len3456_dim1_half_op_CI_CI
	.p2align	8
	.type	bluestein_single_fwd_len3456_dim1_half_op_CI_CI,@function
bluestein_single_fwd_len3456_dim1_half_op_CI_CI: ; @bluestein_single_fwd_len3456_dim1_half_op_CI_CI
; %bb.0:
	s_load_dwordx4 s[16:19], s[4:5], 0x28
	v_mul_u32_u24_e32 v1, 0x1c8, v0
	v_mov_b32_e32 v69, 0
	s_mov_b32 s0, exec_lo
	v_lshrrev_b32_e32 v1, 16, v1
	v_add_nc_u32_e32 v68, s6, v1
	s_waitcnt lgkmcnt(0)
	v_cmpx_gt_u64_e64 s[16:17], v[68:69]
	s_cbranch_execz .LBB0_2
; %bb.1:
	s_clause 0x1
	s_load_dwordx4 s[8:11], s[4:5], 0x18
	s_load_dwordx4 s[0:3], s[4:5], 0x0
	v_mul_lo_u16 v1, 0x90, v1
	v_mov_b32_e32 v53, 2
	s_load_dwordx2 s[4:5], s[4:5], 0x38
	v_sub_nc_u16 v52, v0, v1
	v_and_b32_e32 v96, 0xffff, v52
	v_or_b32_e32 v90, 0x900, v96
	v_lshlrev_b32_e32 v99, 2, v96
	v_add_co_u32 v54, null, 0x90, v96
	s_waitcnt lgkmcnt(0)
	s_load_dwordx4 s[12:15], s[8:9], 0x0
	s_add_u32 s6, s0, 0x3600
	v_add_co_u32 v24, s7, s0, v99
	v_add_co_ci_u32_e64 v32, null, s1, 0, s7
	s_addc_u32 s7, s1, 0
	v_add_co_u32 v20, vcc_lo, 0x800, v24
	v_add_co_ci_u32_e32 v21, vcc_lo, 0, v32, vcc_lo
	s_clause 0x2
	global_load_dword v101, v99, s[0:1]
	global_load_dword v92, v99, s[0:1] offset:576
	global_load_dword v79, v99, s[0:1] offset:1152
	v_lshlrev_b32_e32 v108, 2, v90
	v_add_nc_u32_e32 v117, 0xa00, v99
	v_add_nc_u32_e32 v107, 0x1400, v99
	;; [unrolled: 1-line block ×4, first 2 shown]
	global_load_dword v95, v108, s[0:1]
	v_add_nc_u32_e32 v120, 0x2e00, v99
	v_add_nc_u32_e32 v91, 0x400, v99
	s_waitcnt lgkmcnt(0)
	v_mad_u64_u32 v[0:1], null, s14, v68, 0
	v_mad_u64_u32 v[2:3], null, s12, v96, 0
	s_mul_i32 s9, s13, 0x900
	s_mul_hi_u32 s14, s12, 0x900
	s_mul_i32 s8, s12, 0x900
	s_add_i32 s9, s14, s9
	s_mul_hi_u32 s14, s12, 0xffffd540
	v_add_nc_u32_e32 v104, 0x1a00, v99
	v_mad_u64_u32 v[4:5], null, s15, v68, v[1:2]
	v_mad_u64_u32 v[5:6], null, s12, v90, 0
	s_mul_i32 s15, s12, 0xffffd540
	v_add_nc_u32_e32 v106, 0x800, v99
	v_add_nc_u32_e32 v102, 0x2c00, v99
	;; [unrolled: 1-line block ×3, first 2 shown]
	v_mad_u64_u32 v[7:8], null, s13, v96, v[3:4]
	v_mov_b32_e32 v1, v4
	v_mov_b32_e32 v4, v6
	v_add_nc_u32_e32 v103, 0x2400, v99
	v_add_nc_u32_e32 v88, 0xc00, v99
	;; [unrolled: 1-line block ×3, first 2 shown]
	v_lshlrev_b64 v[0:1], 2, v[0:1]
	v_mov_b32_e32 v3, v7
	v_mad_u64_u32 v[6:7], null, s13, v90, v[4:5]
	v_add_nc_u32_e32 v84, 0x1e00, v99
	v_add_nc_u32_e32 v82, 0x2800, v99
	v_lshlrev_b64 v[2:3], 2, v[2:3]
	v_add_co_u32 v4, vcc_lo, s18, v0
	v_add_co_ci_u32_e32 v11, vcc_lo, s19, v1, vcc_lo
	v_add_nc_u32_e32 v81, 0x3000, v99
	v_add_co_u32 v0, vcc_lo, v4, v2
	v_add_co_ci_u32_e32 v1, vcc_lo, v11, v3, vcc_lo
	v_lshlrev_b64 v[2:3], 2, v[5:6]
	v_add_co_u32 v7, vcc_lo, v0, s8
	v_add_co_ci_u32_e32 v8, vcc_lo, s9, v1, vcc_lo
	v_add_co_u32 v9, vcc_lo, v7, s8
	v_add_co_ci_u32_e32 v10, vcc_lo, s9, v8, vcc_lo
	;; [unrolled: 2-line block ×3, first 2 shown]
	global_load_dword v3, v[0:1], off
	v_add_co_u32 v11, vcc_lo, v9, s8
	global_load_dword v1, v[4:5], off
	v_add_co_ci_u32_e32 v12, vcc_lo, s9, v10, vcc_lo
	v_add_co_u32 v17, vcc_lo, 0x1000, v24
	v_add_co_ci_u32_e32 v18, vcc_lo, 0, v32, vcc_lo
	v_mad_u64_u32 v[13:14], null, 0x1200, s12, v[11:12]
	global_load_dword v100, v[20:21], off offset:256
	global_load_dword v5, v[7:8], off
	v_add_co_u32 v22, vcc_lo, 0x1800, v24
	v_add_co_ci_u32_e32 v23, vcc_lo, 0, v32, vcc_lo
	global_load_dword v98, v[17:18], off offset:512
	global_load_dword v6, v[9:10], off
	v_mov_b32_e32 v0, v14
	v_add_co_u32 v25, vcc_lo, 0x2800, v24
	v_add_co_ci_u32_e32 v26, vcc_lo, 0, v32, vcc_lo
	s_clause 0x1
	global_load_dword v97, v[22:23], off offset:768
	global_load_dword v94, v[25:26], off offset:1280
	global_load_dword v7, v[11:12], off
	s_sub_i32 s12, s14, s12
	v_mul_lo_u16 v4, v52, 6
	v_lshlrev_b32_sdwa v109, v53, v4 dst_sel:DWORD dst_unused:UNUSED_PAD src0_sel:DWORD src1_sel:WORD_0
	v_add_co_u32 v4, null, 0x120, v96
	s_waitcnt vmcnt(7)
	v_mad_u64_u32 v[8:9], null, 0x1200, s13, v[0:1]
	s_mulk_i32 s13, 0xd540
	s_add_i32 s12, s12, s13
	v_mov_b32_e32 v14, v8
	v_add_co_u32 v8, vcc_lo, v13, s15
	v_add_co_ci_u32_e32 v9, vcc_lo, s12, v14, vcc_lo
	v_add_co_u32 v10, vcc_lo, v8, s8
	global_load_dword v2, v[13:14], off
	v_add_co_ci_u32_e32 v11, vcc_lo, s9, v9, vcc_lo
	v_add_co_u32 v14, vcc_lo, v10, s8
	global_load_dword v0, v[8:9], off
	v_add_co_ci_u32_e32 v15, vcc_lo, s9, v11, vcc_lo
	v_add_co_u32 v27, vcc_lo, 0x2000, v24
	v_add_co_ci_u32_e32 v28, vcc_lo, 0, v32, vcc_lo
	global_load_dword v13, v[10:11], off
	s_clause 0x1
	global_load_dword v93, v[20:21], off offset:832
	global_load_dword v89, v[17:18], off offset:1088
	global_load_dword v9, v[14:15], off
	v_add_co_u32 v10, vcc_lo, v14, s8
	v_add_co_ci_u32_e32 v11, vcc_lo, s9, v15, vcc_lo
	global_load_dword v87, v[22:23], off offset:1344
	v_add_co_u32 v14, vcc_lo, v10, s8
	v_add_co_ci_u32_e32 v15, vcc_lo, s9, v11, vcc_lo
	global_load_dword v11, v[10:11], off
	v_add_co_u32 v29, vcc_lo, v14, s8
	v_add_co_ci_u32_e32 v30, vcc_lo, s9, v15, vcc_lo
	s_clause 0x1
	global_load_dword v85, v[27:28], off offset:1600
	global_load_dword v83, v[25:26], off offset:1856
	global_load_dword v16, v[14:15], off
	global_load_dword v80, v[20:21], off offset:1408
	global_load_dword v14, v[29:30], off
	v_add_co_u32 v29, vcc_lo, v29, s15
	v_add_co_ci_u32_e32 v30, vcc_lo, s12, v30, vcc_lo
	global_load_dword v78, v[17:18], off offset:1664
	v_add_co_u32 v18, vcc_lo, v29, s8
	v_add_co_ci_u32_e32 v19, vcc_lo, s9, v30, vcc_lo
	global_load_dword v17, v[29:30], off
	v_add_co_u32 v29, vcc_lo, v18, s8
	v_add_co_ci_u32_e32 v30, vcc_lo, s9, v19, vcc_lo
	global_load_dword v15, v[18:19], off
	;; [unrolled: 3-line block ×3, first 2 shown]
	v_add_co_u32 v29, vcc_lo, v18, s8
	v_add_co_ci_u32_e32 v30, vcc_lo, s9, v19, vcc_lo
	s_clause 0x1
	global_load_dword v77, v[22:23], off offset:1920
	global_load_dword v76, v[25:26], off offset:128
	global_load_dword v12, v[18:19], off
	global_load_dword v8, v[29:30], off
	v_add_co_u32 v29, vcc_lo, v29, s8
	v_add_co_ci_u32_e32 v30, vcc_lo, s9, v30, vcc_lo
	v_add_co_u32 v31, vcc_lo, 0x3000, v24
	v_add_co_ci_u32_e32 v32, vcc_lo, 0, v32, vcc_lo
	global_load_dword v18, v[29:30], off
	v_add_co_u32 v29, vcc_lo, v29, s15
	v_add_co_ci_u32_e32 v30, vcc_lo, s12, v30, vcc_lo
	global_load_dword v75, v[31:32], off offset:384
	v_add_co_u32 v33, vcc_lo, v29, s8
	v_add_co_ci_u32_e32 v34, vcc_lo, s9, v30, vcc_lo
	global_load_dword v74, v99, s[0:1] offset:1728
	global_load_dword v19, v[29:30], off
	s_clause 0x1
	global_load_dword v73, v[20:21], off offset:1984
	global_load_dword v72, v[22:23], off offset:192
	global_load_dword v20, v[33:34], off
	v_add_co_u32 v21, vcc_lo, v33, s8
	v_add_co_ci_u32_e32 v22, vcc_lo, s9, v34, vcc_lo
	global_load_dword v71, v[27:28], off offset:448
	v_add_co_u32 v23, vcc_lo, v21, s8
	v_add_co_ci_u32_e32 v24, vcc_lo, s9, v22, vcc_lo
	global_load_dword v21, v[21:22], off
	v_add_co_u32 v27, vcc_lo, v23, s8
	v_add_co_ci_u32_e32 v28, vcc_lo, s9, v24, vcc_lo
	global_load_dword v22, v[23:24], off
	;; [unrolled: 3-line block ×3, first 2 shown]
	global_load_dword v24, v[29:30], off
	s_clause 0x1
	global_load_dword v70, v[25:26], off offset:704
	global_load_dword v69, v[31:32], off offset:960
	v_lshrrev_b32_e32 v25, 16, v3
	v_mul_f16_sdwa v26, v101, v3 dst_sel:DWORD dst_unused:UNUSED_PAD src0_sel:WORD_1 src1_sel:DWORD
	v_lshrrev_b32_e32 v27, 16, v1
	v_mul_f16_sdwa v28, v95, v1 dst_sel:DWORD dst_unused:UNUSED_PAD src0_sel:WORD_1 src1_sel:DWORD
	s_waitcnt vmcnt(40)
	v_mul_f16_sdwa v30, v100, v5 dst_sel:DWORD dst_unused:UNUSED_PAD src0_sel:WORD_1 src1_sel:DWORD
	v_mul_f16_sdwa v29, v101, v25 dst_sel:DWORD dst_unused:UNUSED_PAD src0_sel:WORD_1 src1_sel:DWORD
	v_fma_f16 v25, v101, v25, -v26
	v_lshrrev_b32_e32 v26, 16, v5
	v_mul_f16_sdwa v31, v95, v27 dst_sel:DWORD dst_unused:UNUSED_PAD src0_sel:WORD_1 src1_sel:DWORD
	v_fma_f16 v27, v95, v27, -v28
	v_fmac_f16_e32 v29, v101, v3
	s_waitcnt vmcnt(38)
	v_lshrrev_b32_e32 v28, 16, v6
	v_mul_f16_sdwa v3, v100, v26 dst_sel:DWORD dst_unused:UNUSED_PAD src0_sel:WORD_1 src1_sel:DWORD
	v_fma_f16 v26, v100, v26, -v30
	v_mul_f16_sdwa v30, v98, v6 dst_sel:DWORD dst_unused:UNUSED_PAD src0_sel:WORD_1 src1_sel:DWORD
	v_fmac_f16_e32 v31, v95, v1
	v_pack_b32_f16 v1, v29, v25
	s_waitcnt vmcnt(35)
	v_lshrrev_b32_e32 v25, 16, v7
	v_fmac_f16_e32 v3, v100, v5
	v_mul_f16_sdwa v5, v98, v28 dst_sel:DWORD dst_unused:UNUSED_PAD src0_sel:WORD_1 src1_sel:DWORD
	v_fma_f16 v28, v98, v28, -v30
	v_mul_f16_sdwa v29, v97, v7 dst_sel:DWORD dst_unused:UNUSED_PAD src0_sel:WORD_1 src1_sel:DWORD
	v_mul_f16_sdwa v30, v97, v25 dst_sel:DWORD dst_unused:UNUSED_PAD src0_sel:WORD_1 src1_sel:DWORD
	v_pack_b32_f16 v3, v3, v26
	v_fmac_f16_e32 v5, v98, v6
	v_pack_b32_f16 v27, v31, v27
	v_fma_f16 v6, v97, v25, -v29
	v_fmac_f16_e32 v30, v97, v7
	ds_write_b32 v99, v3 offset:2304
	v_pack_b32_f16 v5, v5, v28
	ds_write_b32 v99, v27 offset:9216
	s_load_dwordx4 s[8:11], s[10:11], 0x0
	v_pack_b32_f16 v3, v30, v6
	v_cmp_gt_u16_e32 vcc_lo, 0x48, v52
	ds_write_b32 v99, v5 offset:4608
	ds_write_b32 v99, v3 offset:6912
	s_waitcnt vmcnt(34)
	v_lshrrev_b32_e32 v7, 16, v2
	v_mul_f16_sdwa v6, v94, v2 dst_sel:DWORD dst_unused:UNUSED_PAD src0_sel:WORD_1 src1_sel:DWORD
	v_mul_f16_sdwa v5, v94, v7 dst_sel:DWORD dst_unused:UNUSED_PAD src0_sel:WORD_1 src1_sel:DWORD
	s_waitcnt vmcnt(33)
	v_lshrrev_b32_e32 v25, 16, v0
	v_fma_f16 v3, v94, v7, -v6
	v_mul_f16_sdwa v6, v92, v0 dst_sel:DWORD dst_unused:UNUSED_PAD src0_sel:WORD_1 src1_sel:DWORD
	s_waitcnt vmcnt(32)
	v_lshrrev_b32_e32 v7, 16, v13
	v_fmac_f16_e32 v5, v94, v2
	v_mul_f16_sdwa v2, v92, v25 dst_sel:DWORD dst_unused:UNUSED_PAD src0_sel:WORD_1 src1_sel:DWORD
	s_waitcnt vmcnt(31)
	v_mul_f16_sdwa v26, v93, v13 dst_sel:DWORD dst_unused:UNUSED_PAD src0_sel:WORD_1 src1_sel:DWORD
	v_fma_f16 v6, v92, v25, -v6
	s_waitcnt vmcnt(29)
	v_mul_f16_sdwa v25, v89, v9 dst_sel:DWORD dst_unused:UNUSED_PAD src0_sel:WORD_1 src1_sel:DWORD
	v_pack_b32_f16 v3, v5, v3
	v_fmac_f16_e32 v2, v92, v0
	v_mul_f16_sdwa v0, v93, v7 dst_sel:DWORD dst_unused:UNUSED_PAD src0_sel:WORD_1 src1_sel:DWORD
	v_fma_f16 v5, v93, v7, -v26
	v_lshrrev_b32_e32 v7, 16, v9
	ds_write_b32 v99, v3 offset:11520
	v_pack_b32_f16 v2, v2, v6
	v_fmac_f16_e32 v0, v93, v13
	s_waitcnt vmcnt(27)
	v_mul_f16_sdwa v13, v87, v11 dst_sel:DWORD dst_unused:UNUSED_PAD src0_sel:WORD_1 src1_sel:DWORD
	v_mul_f16_sdwa v3, v89, v7 dst_sel:DWORD dst_unused:UNUSED_PAD src0_sel:WORD_1 src1_sel:DWORD
	v_fma_f16 v6, v89, v7, -v25
	v_lshrrev_b32_e32 v7, 16, v11
	ds_write2_b32 v99, v1, v2 offset1:144
	s_waitcnt vmcnt(24)
	v_lshrrev_b32_e32 v2, 16, v16
	v_fmac_f16_e32 v3, v89, v9
	v_pack_b32_f16 v0, v0, v5
	v_mul_f16_sdwa v1, v87, v7 dst_sel:DWORD dst_unused:UNUSED_PAD src0_sel:WORD_1 src1_sel:DWORD
	v_fma_f16 v5, v87, v7, -v13
	v_mul_f16_sdwa v7, v85, v16 dst_sel:DWORD dst_unused:UNUSED_PAD src0_sel:WORD_1 src1_sel:DWORD
	v_pack_b32_f16 v3, v3, v6
	v_mul_f16_sdwa v6, v85, v2 dst_sel:DWORD dst_unused:UNUSED_PAD src0_sel:WORD_1 src1_sel:DWORD
	v_fmac_f16_e32 v1, v87, v11
	s_waitcnt vmcnt(22)
	v_lshrrev_b32_e32 v9, 16, v14
	v_fma_f16 v2, v85, v2, -v7
	v_mul_f16_sdwa v7, v83, v14 dst_sel:DWORD dst_unused:UNUSED_PAD src0_sel:WORD_1 src1_sel:DWORD
	v_fmac_f16_e32 v6, v85, v16
	v_pack_b32_f16 v1, v1, v5
	v_mul_f16_sdwa v5, v83, v9 dst_sel:DWORD dst_unused:UNUSED_PAD src0_sel:WORD_1 src1_sel:DWORD
	s_waitcnt vmcnt(20)
	v_lshrrev_b32_e32 v11, 16, v17
	v_fma_f16 v7, v83, v9, -v7
	v_mul_f16_sdwa v9, v79, v17 dst_sel:DWORD dst_unused:UNUSED_PAD src0_sel:WORD_1 src1_sel:DWORD
	v_pack_b32_f16 v2, v6, v2
	v_fmac_f16_e32 v5, v83, v14
	v_mul_f16_sdwa v6, v79, v11 dst_sel:DWORD dst_unused:UNUSED_PAD src0_sel:WORD_1 src1_sel:DWORD
	s_waitcnt vmcnt(19)
	v_lshrrev_b32_e32 v13, 16, v15
	v_fma_f16 v9, v79, v11, -v9
	v_mul_f16_sdwa v11, v80, v15 dst_sel:DWORD dst_unused:UNUSED_PAD src0_sel:WORD_1 src1_sel:DWORD
	v_pack_b32_f16 v5, v5, v7
	v_fmac_f16_e32 v6, v79, v17
	;; [unrolled: 7-line block ×3, first 2 shown]
	v_mul_f16_sdwa v9, v78, v14 dst_sel:DWORD dst_unused:UNUSED_PAD src0_sel:WORD_1 src1_sel:DWORD
	s_waitcnt vmcnt(15)
	v_lshrrev_b32_e32 v15, 16, v12
	v_mul_f16_sdwa v16, v77, v12 dst_sel:DWORD dst_unused:UNUSED_PAD src0_sel:WORD_1 src1_sel:DWORD
	v_fma_f16 v13, v78, v14, -v13
	v_pack_b32_f16 v7, v7, v11
	v_fmac_f16_e32 v9, v78, v10
	v_mul_f16_sdwa v10, v77, v15 dst_sel:DWORD dst_unused:UNUSED_PAD src0_sel:WORD_1 src1_sel:DWORD
	s_waitcnt vmcnt(14)
	v_lshrrev_b32_e32 v14, 16, v8
	v_fma_f16 v11, v77, v15, -v16
	v_mul_f16_sdwa v15, v76, v8 dst_sel:DWORD dst_unused:UNUSED_PAD src0_sel:WORD_1 src1_sel:DWORD
	ds_write2_b32 v117, v0, v7 offset0:80 offset1:224
	v_pack_b32_f16 v0, v9, v13
	v_fmac_f16_e32 v10, v77, v12
	v_mul_f16_sdwa v7, v76, v14 dst_sel:DWORD dst_unused:UNUSED_PAD src0_sel:WORD_1 src1_sel:DWORD
	s_waitcnt vmcnt(13)
	v_lshrrev_b32_e32 v12, 16, v18
	v_fma_f16 v9, v76, v14, -v15
	s_waitcnt vmcnt(12)
	v_mul_f16_sdwa v13, v75, v18 dst_sel:DWORD dst_unused:UNUSED_PAD src0_sel:WORD_1 src1_sel:DWORD
	ds_write2_b32 v107, v3, v0 offset0:16 offset1:160
	v_pack_b32_f16 v0, v10, v11
	v_fmac_f16_e32 v7, v76, v8
	v_mul_f16_sdwa v3, v75, v12 dst_sel:DWORD dst_unused:UNUSED_PAD src0_sel:WORD_1 src1_sel:DWORD
	s_waitcnt vmcnt(10)
	v_lshrrev_b32_e32 v10, 16, v19
	v_fma_f16 v8, v75, v12, -v13
	v_mul_f16_sdwa v11, v74, v19 dst_sel:DWORD dst_unused:UNUSED_PAD src0_sel:WORD_1 src1_sel:DWORD
	ds_write2_b32 v118, v1, v0 offset0:80 offset1:224
	v_pack_b32_f16 v0, v7, v9
	v_fmac_f16_e32 v3, v75, v18
	v_mul_f16_sdwa v1, v74, v10 dst_sel:DWORD dst_unused:UNUSED_PAD src0_sel:WORD_1 src1_sel:DWORD
	v_fma_f16 v7, v74, v10, -v11
	s_waitcnt vmcnt(7)
	v_lshrrev_b32_e32 v9, 16, v20
	v_mul_f16_sdwa v10, v73, v20 dst_sel:DWORD dst_unused:UNUSED_PAD src0_sel:WORD_1 src1_sel:DWORD
	ds_write2_b32 v119, v2, v0 offset0:16 offset1:160
	v_pack_b32_f16 v0, v3, v8
	v_fmac_f16_e32 v1, v74, v19
	v_mul_f16_sdwa v2, v73, v9 dst_sel:DWORD dst_unused:UNUSED_PAD src0_sel:WORD_1 src1_sel:DWORD
	v_fma_f16 v3, v73, v9, -v10
	s_waitcnt vmcnt(5)
	v_lshrrev_b32_e32 v8, 16, v21
	v_mul_f16_sdwa v9, v72, v21 dst_sel:DWORD dst_unused:UNUSED_PAD src0_sel:WORD_1 src1_sel:DWORD
	ds_write2_b32 v120, v5, v0 offset0:80 offset1:224
	v_pack_b32_f16 v0, v1, v7
	s_waitcnt vmcnt(4)
	v_lshrrev_b32_e32 v7, 16, v22
	v_mul_f16_sdwa v1, v72, v8 dst_sel:DWORD dst_unused:UNUSED_PAD src0_sel:WORD_1 src1_sel:DWORD
	v_fma_f16 v5, v72, v8, -v9
	v_mul_f16_sdwa v8, v71, v22 dst_sel:DWORD dst_unused:UNUSED_PAD src0_sel:WORD_1 src1_sel:DWORD
	ds_write2_b32 v91, v6, v0 offset0:32 offset1:176
	s_waitcnt vmcnt(3)
	v_lshrrev_b32_e32 v0, 16, v23
	s_waitcnt vmcnt(2)
	v_lshrrev_b32_e32 v9, 16, v24
	v_mul_f16_sdwa v6, v71, v7 dst_sel:DWORD dst_unused:UNUSED_PAD src0_sel:WORD_1 src1_sel:DWORD
	v_fma_f16 v7, v71, v7, -v8
	s_waitcnt vmcnt(1)
	v_mul_f16_sdwa v8, v70, v23 dst_sel:DWORD dst_unused:UNUSED_PAD src0_sel:WORD_1 src1_sel:DWORD
	v_mul_f16_sdwa v10, v70, v0 dst_sel:DWORD dst_unused:UNUSED_PAD src0_sel:WORD_1 src1_sel:DWORD
	s_waitcnt vmcnt(0)
	v_mul_f16_sdwa v11, v69, v24 dst_sel:DWORD dst_unused:UNUSED_PAD src0_sel:WORD_1 src1_sel:DWORD
	v_mul_f16_sdwa v12, v69, v9 dst_sel:DWORD dst_unused:UNUSED_PAD src0_sel:WORD_1 src1_sel:DWORD
	v_fmac_f16_e32 v2, v73, v20
	v_fmac_f16_e32 v1, v72, v21
	;; [unrolled: 1-line block ×3, first 2 shown]
	v_fma_f16 v0, v70, v0, -v8
	v_fmac_f16_e32 v10, v70, v23
	v_fma_f16 v8, v69, v9, -v11
	v_fmac_f16_e32 v12, v69, v24
	v_pack_b32_f16 v2, v2, v3
	v_pack_b32_f16 v1, v1, v5
	;; [unrolled: 1-line block ×5, first 2 shown]
	v_mul_u32_u24_e32 v13, 6, v54
	v_mul_u32_u24_e32 v14, 6, v4
	ds_write_b32 v99, v2 offset:4032
	ds_write_b32 v99, v1 offset:6336
	;; [unrolled: 1-line block ×5, first 2 shown]
	s_waitcnt lgkmcnt(0)
	s_barrier
	buffer_gl0_inv
	ds_read2_b32 v[0:1], v99 offset1:144
	ds_read2_b32 v[2:3], v106 offset0:64 offset1:208
	ds_read2_b32 v[5:6], v105 offset1:144
	ds_read2_b32 v[7:8], v103 offset1:144
	ds_read2_b32 v[9:10], v104 offset0:64 offset1:208
	ds_read2_b32 v[11:12], v102 offset0:64 offset1:208
	v_lshlrev_b32_e32 v111, 2, v13
	v_lshlrev_b32_e32 v110, 2, v14
	ds_read2_b32 v[13:14], v91 offset0:32 offset1:176
	ds_read2_b32 v[15:16], v88 offset0:96 offset1:240
	;; [unrolled: 1-line block ×6, first 2 shown]
	s_waitcnt lgkmcnt(0)
	s_barrier
	buffer_gl0_inv
	v_lshrrev_b32_e32 v37, 16, v1
	v_lshrrev_b32_e32 v26, 16, v2
	v_lshrrev_b32_e32 v43, 16, v3
	v_add_f16_e32 v28, v5, v7
	v_add_f16_e32 v33, v9, v11
	v_add_f16_sdwa v35, v9, v11 dst_sel:DWORD dst_unused:UNUSED_PAD src0_sel:WORD_1 src1_sel:WORD_1
	v_add_f16_e32 v45, v10, v12
	v_add_f16_sdwa v47, v10, v12 dst_sel:DWORD dst_unused:UNUSED_PAD src0_sel:WORD_1 src1_sel:WORD_1
	v_lshrrev_b32_e32 v49, 16, v13
	v_lshrrev_b32_e32 v50, 16, v15
	v_add_f16_e32 v58, v19, v23
	v_add_f16_sdwa v60, v19, v23 dst_sel:DWORD dst_unused:UNUSED_PAD src0_sel:WORD_1 src1_sel:WORD_1
	v_lshrrev_b32_e32 v25, 16, v0
	v_add_f16_e32 v27, v0, v5
	v_sub_f16_sdwa v29, v5, v7 dst_sel:DWORD dst_unused:UNUSED_PAD src0_sel:WORD_1 src1_sel:WORD_1
	v_add_f16_sdwa v30, v5, v7 dst_sel:DWORD dst_unused:UNUSED_PAD src0_sel:WORD_1 src1_sel:WORD_1
	v_add_f16_e32 v32, v2, v9
	v_sub_f16_sdwa v34, v9, v11 dst_sel:DWORD dst_unused:UNUSED_PAD src0_sel:WORD_1 src1_sel:WORD_1
	v_sub_f16_e32 v36, v9, v11
	v_add_f16_e32 v38, v1, v6
	v_add_f16_sdwa v41, v6, v8 dst_sel:DWORD dst_unused:UNUSED_PAD src0_sel:WORD_1 src1_sel:WORD_1
	v_add_f16_e32 v62, v13, v17
	v_add_f16_e32 v63, v15, v19
	v_lshrrev_b32_e32 v65, 16, v14
	v_fma_f16 v0, -0.5, v28, v0
	v_fma_f16 v2, -0.5, v33, v2
	v_add_f16_sdwa v9, v26, v9 dst_sel:DWORD dst_unused:UNUSED_PAD src0_sel:DWORD src1_sel:WORD_1
	v_fmac_f16_e32 v26, -0.5, v35
	v_add_f16_e32 v39, v6, v8
	v_sub_f16_sdwa v40, v6, v8 dst_sel:DWORD dst_unused:UNUSED_PAD src0_sel:WORD_1 src1_sel:WORD_1
	v_sub_f16_e32 v42, v6, v8
	v_add_f16_e32 v44, v3, v10
	v_sub_f16_sdwa v46, v10, v12 dst_sel:DWORD dst_unused:UNUSED_PAD src0_sel:WORD_1 src1_sel:WORD_1
	v_sub_f16_e32 v48, v10, v12
	v_add_f16_e32 v51, v17, v21
	v_add_f16_sdwa v6, v37, v6 dst_sel:DWORD dst_unused:UNUSED_PAD src0_sel:DWORD src1_sel:WORD_1
	v_add_f16_sdwa v10, v43, v10 dst_sel:DWORD dst_unused:UNUSED_PAD src0_sel:DWORD src1_sel:WORD_1
	v_fmac_f16_e32 v43, -0.5, v47
	v_fmac_f16_e32 v3, -0.5, v45
	v_sub_f16_sdwa v55, v17, v21 dst_sel:DWORD dst_unused:UNUSED_PAD src0_sel:WORD_1 src1_sel:WORD_1
	v_add_f16_sdwa v56, v17, v21 dst_sel:DWORD dst_unused:UNUSED_PAD src0_sel:WORD_1 src1_sel:WORD_1
	v_sub_f16_e32 v57, v17, v21
	v_sub_f16_sdwa v59, v19, v23 dst_sel:DWORD dst_unused:UNUSED_PAD src0_sel:WORD_1 src1_sel:WORD_1
	v_sub_f16_e32 v61, v19, v23
	v_add_f16_sdwa v17, v49, v17 dst_sel:DWORD dst_unused:UNUSED_PAD src0_sel:DWORD src1_sel:WORD_1
	v_fma_f16 v15, -0.5, v58, v15
	v_add_f16_sdwa v19, v50, v19 dst_sel:DWORD dst_unused:UNUSED_PAD src0_sel:DWORD src1_sel:WORD_1
	v_fmac_f16_e32 v50, -0.5, v60
	v_sub_f16_e32 v31, v5, v7
	v_add_f16_e32 v64, v18, v22
	v_add_f16_e32 v66, v14, v18
	v_add_f16_sdwa v67, v18, v22 dst_sel:DWORD dst_unused:UNUSED_PAD src0_sel:WORD_1 src1_sel:WORD_1
	v_sub_f16_sdwa v112, v18, v22 dst_sel:DWORD dst_unused:UNUSED_PAD src0_sel:WORD_1 src1_sel:WORD_1
	v_sub_f16_e32 v116, v18, v22
	v_add_f16_sdwa v5, v25, v5 dst_sel:DWORD dst_unused:UNUSED_PAD src0_sel:DWORD src1_sel:WORD_1
	v_fmac_f16_e32 v25, -0.5, v30
	v_add_f16_e32 v30, v38, v8
	v_fmac_f16_e32 v37, -0.5, v41
	v_add_f16_e32 v33, v62, v21
	v_add_f16_e32 v35, v63, v23
	v_add_f16_sdwa v38, v65, v18 dst_sel:DWORD dst_unused:UNUSED_PAD src0_sel:DWORD src1_sel:WORD_1
	v_fmamk_f16 v18, v29, 0x3aee, v0
	v_fmac_f16_e32 v0, 0xbaee, v29
	v_fmamk_f16 v29, v34, 0x3aee, v2
	v_fmac_f16_e32 v2, 0xbaee, v34
	;; [unrolled: 2-line block ×3, first 2 shown]
	v_add_f16_e32 v28, v32, v11
	v_add_f16_e32 v32, v44, v12
	v_fma_f16 v13, -0.5, v51, v13
	v_add_f16_sdwa v6, v6, v8 dst_sel:DWORD dst_unused:UNUSED_PAD src0_sel:DWORD src1_sel:WORD_1
	v_add_f16_sdwa v8, v10, v12 dst_sel:DWORD dst_unused:UNUSED_PAD src0_sel:DWORD src1_sel:WORD_1
	v_fmamk_f16 v10, v48, 0xbaee, v43
	v_fmac_f16_e32 v43, 0x3aee, v48
	v_fmamk_f16 v12, v46, 0x3aee, v3
	v_fmac_f16_e32 v3, 0xbaee, v46
	v_add_f16_e32 v27, v27, v7
	v_fmac_f16_e32 v1, -0.5, v39
	v_fmac_f16_e32 v49, -0.5, v56
	v_fmamk_f16 v39, v59, 0x3aee, v15
	v_fmac_f16_e32 v15, 0xbaee, v59
	v_fmamk_f16 v41, v61, 0xbaee, v50
	v_fmac_f16_e32 v50, 0x3aee, v61
	v_add_f16_sdwa v17, v17, v21 dst_sel:DWORD dst_unused:UNUSED_PAD src0_sel:DWORD src1_sel:WORD_1
	v_add_f16_sdwa v19, v19, v23 dst_sel:DWORD dst_unused:UNUSED_PAD src0_sel:DWORD src1_sel:WORD_1
	;; [unrolled: 1-line block ×3, first 2 shown]
	v_fmamk_f16 v7, v31, 0xbaee, v25
	v_fmac_f16_e32 v25, 0x3aee, v31
	v_add_f16_sdwa v9, v9, v11 dst_sel:DWORD dst_unused:UNUSED_PAD src0_sel:DWORD src1_sel:WORD_1
	v_fmamk_f16 v31, v42, 0xbaee, v37
	v_fmac_f16_e32 v37, 0x3aee, v42
	v_sub_f16_e32 v21, v33, v35
	v_add_f16_e32 v23, v33, v35
	v_mul_f16_e32 v35, -0.5, v2
	v_mul_f16_e32 v42, -0.5, v26
	v_mul_f16_e32 v44, 0x3aee, v34
	v_mul_f16_e32 v45, 0xbaee, v29
	v_sub_f16_e32 v36, v30, v32
	v_add_f16_e32 v30, v30, v32
	v_fmamk_f16 v32, v55, 0x3aee, v13
	v_fmac_f16_e32 v13, 0xbaee, v55
	v_mul_f16_e32 v47, -0.5, v43
	v_mul_f16_e32 v48, -0.5, v3
	v_mul_f16_e32 v51, 0x3aee, v10
	v_mul_f16_e32 v55, 0xbaee, v12
	v_add_f16_e32 v11, v27, v28
	v_sub_f16_e32 v27, v27, v28
	v_fmamk_f16 v28, v40, 0x3aee, v1
	v_fmac_f16_e32 v1, 0xbaee, v40
	v_fmamk_f16 v40, v57, 0xbaee, v49
	v_fmac_f16_e32 v49, 0x3aee, v57
	v_mul_f16_e32 v56, -0.5, v15
	v_mul_f16_e32 v57, -0.5, v50
	v_sub_f16_e32 v58, v17, v19
	v_add_f16_e32 v17, v17, v19
	v_mul_f16_e32 v19, 0x3aee, v41
	v_mul_f16_e32 v59, 0xbaee, v39
	v_sub_f16_e32 v46, v5, v9
	v_add_f16_e32 v5, v5, v9
	v_sub_f16_e32 v9, v6, v8
	v_add_f16_e32 v6, v6, v8
	v_fmac_f16_e32 v35, 0x3aee, v26
	v_fmac_f16_e32 v42, 0xbaee, v2
	v_fmac_f16_e32 v44, 0.5, v29
	v_fmac_f16_e32 v45, 0.5, v34
	v_fmac_f16_e32 v47, 0xbaee, v3
	v_fmac_f16_e32 v48, 0x3aee, v43
	v_fmac_f16_e32 v51, 0.5, v12
	v_fmac_f16_e32 v55, 0.5, v10
	;; [unrolled: 4-line block ×3, first 2 shown]
	v_pack_b32_f16 v5, v11, v5
	v_pack_b32_f16 v8, v36, v9
	;; [unrolled: 1-line block ×3, first 2 shown]
	v_add_f16_e32 v3, v0, v35
	v_add_f16_e32 v6, v25, v42
	;; [unrolled: 1-line block ×4, first 2 shown]
	v_sub_f16_e32 v15, v18, v44
	v_sub_f16_e32 v0, v0, v35
	;; [unrolled: 1-line block ×4, first 2 shown]
	v_pack_b32_f16 v2, v27, v46
	v_pack_b32_f16 v12, v21, v58
	;; [unrolled: 1-line block ×3, first 2 shown]
	v_add_f16_e32 v21, v1, v48
	v_add_f16_e32 v23, v37, v47
	;; [unrolled: 1-line block ×4, first 2 shown]
	v_sub_f16_e32 v30, v1, v48
	v_sub_f16_e32 v34, v28, v51
	;; [unrolled: 1-line block ×4, first 2 shown]
	v_add_f16_e32 v35, v13, v56
	v_add_f16_e32 v36, v49, v57
	;; [unrolled: 1-line block ×4, first 2 shown]
	v_lshrrev_b32_e32 v113, 16, v16
	v_add_f16_sdwa v115, v20, v24 dst_sel:DWORD dst_unused:UNUSED_PAD src0_sel:WORD_1 src1_sel:WORD_1
	v_pack_b32_f16 v1, v3, v6
	v_pack_b32_f16 v6, v10, v11
	;; [unrolled: 1-line block ×10, first 2 shown]
	v_add_f16_e32 v114, v20, v24
	ds_write2_b64 v109, v[5:6], v[1:2] offset1:1
	ds_write_b64 v109, v[25:26] offset:16
	ds_write2_b64 v111, v[9:10], v[7:8] offset1:1
	ds_write_b64 v111, v[27:28] offset:16
	ds_write2_b64 v110, v[17:18], v[11:12] offset1:1
	v_add_f16_sdwa v1, v113, v20 dst_sel:DWORD dst_unused:UNUSED_PAD src0_sel:DWORD src1_sel:WORD_1
	v_fmac_f16_e32 v113, -0.5, v115
	v_sub_f16_e32 v3, v20, v24
	v_add_f16_e32 v0, v16, v20
	v_fmac_f16_e32 v16, -0.5, v114
	v_sub_f16_sdwa v2, v20, v24 dst_sel:DWORD dst_unused:UNUSED_PAD src0_sel:WORD_1 src1_sel:WORD_1
	v_fmac_f16_e32 v14, -0.5, v64
	v_fmamk_f16 v8, v3, 0xbaee, v113
	v_fmac_f16_e32 v113, 0x3aee, v3
	v_fmac_f16_e32 v65, -0.5, v67
	v_fmamk_f16 v7, v2, 0x3aee, v16
	v_fmac_f16_e32 v16, 0xbaee, v2
	v_mul_f16_e32 v3, 0x3aee, v8
	v_add_f16_e32 v5, v66, v22
	v_add_f16_e32 v0, v0, v24
	v_mul_f16_e32 v10, 0xbaee, v7
	v_mul_f16_e32 v9, -0.5, v16
	v_fmac_f16_e32 v3, 0.5, v7
	v_mul_f16_e32 v7, -0.5, v113
	v_mov_b32_e32 v17, 0xaaab
	v_fmamk_f16 v33, v112, 0x3aee, v14
	v_fmac_f16_e32 v14, 0xbaee, v112
	v_sub_f16_e32 v19, v32, v19
	v_add_co_u32 v32, null, 0x1b0, v96
	v_add_f16_sdwa v6, v38, v22 dst_sel:DWORD dst_unused:UNUSED_PAD src0_sel:DWORD src1_sel:WORD_1
	v_fmamk_f16 v2, v116, 0xbaee, v65
	v_fmac_f16_e32 v65, 0x3aee, v116
	v_add_f16_sdwa v1, v1, v24 dst_sel:DWORD dst_unused:UNUSED_PAD src0_sel:DWORD src1_sel:WORD_1
	v_fmac_f16_e32 v9, 0x3aee, v113
	v_add_f16_e32 v11, v5, v0
	v_fmac_f16_e32 v10, 0.5, v8
	v_fmac_f16_e32 v7, 0xbaee, v16
	v_sub_f16_e32 v18, v5, v0
	v_and_b32_e32 v5, 0xff, v52
	v_sub_f16_e32 v13, v13, v56
	v_sub_f16_e32 v40, v40, v59
	;; [unrolled: 1-line block ×3, first 2 shown]
	v_mul_u32_u24_sdwa v0, v54, v17 dst_sel:DWORD dst_unused:UNUSED_PAD src0_sel:WORD_0 src1_sel:DWORD
	v_add_f16_e32 v8, v33, v3
	v_add_f16_e32 v12, v14, v9
	;; [unrolled: 1-line block ×4, first 2 shown]
	v_sub_f16_e32 v14, v14, v9
	v_add_f16_e32 v9, v65, v7
	v_sub_f16_e32 v20, v33, v3
	v_sub_f16_e32 v3, v6, v1
	;; [unrolled: 1-line block ×3, first 2 shown]
	v_mul_lo_u16 v2, 0xab, v5
	v_sub_f16_e32 v21, v65, v7
	v_mul_u32_u24_e32 v7, 6, v32
	v_lshrrev_b32_e32 v6, 18, v0
	v_pack_b32_f16 v1, v13, v41
	v_pack_b32_f16 v0, v19, v40
	v_lshrrev_b16 v22, 10, v2
	v_lshlrev_b32_e32 v122, 2, v7
	v_pack_b32_f16 v2, v12, v9
	v_pack_b32_f16 v9, v8, v16
	;; [unrolled: 1-line block ×4, first 2 shown]
	ds_write_b64 v110, v[0:1] offset:16
	v_mul_u32_u24_sdwa v0, v4, v17 dst_sel:DWORD dst_unused:UNUSED_PAD src0_sel:WORD_0 src1_sel:DWORD
	v_mul_lo_u16 v13, v6, 6
	v_mul_lo_u16 v12, v22, 6
	ds_write2_b64 v122, v[8:9], v[2:3] offset1:1
	v_mul_u32_u24_sdwa v3, v32, v17 dst_sel:DWORD dst_unused:UNUSED_PAD src0_sel:WORD_0 src1_sel:DWORD
	v_lshrrev_b32_e32 v49, 18, v0
	v_sub_nc_u16 v7, v54, v13
	v_pack_b32_f16 v10, v20, v10
	v_sub_nc_u16 v12, v52, v12
	v_lshrrev_b32_e32 v20, 18, v3
	v_mul_lo_u16 v8, v49, 6
	v_mul_lo_u16 v13, v7, 20
	v_pack_b32_f16 v11, v14, v21
	v_and_b32_e32 v31, 0xff, v12
	v_mul_lo_u16 v9, v20, 6
	v_sub_nc_u16 v50, v4, v8
	v_and_b32_e32 v2, 0xffff, v13
	ds_write_b64 v122, v[10:11] offset:16
	v_mad_u64_u32 v[0:1], null, v31, 20, s[2:3]
	v_sub_nc_u16 v21, v32, v9
	v_mul_lo_u16 v8, v50, 20
	v_add_co_u32 v2, s0, s2, v2
	v_add_co_ci_u32_e64 v3, null, s3, 0, s0
	v_mul_lo_u16 v9, v21, 20
	v_and_b32_e32 v8, 0xffff, v8
	s_waitcnt lgkmcnt(0)
	s_barrier
	buffer_gl0_inv
	s_clause 0x2
	global_load_dwordx4 v[16:19], v[0:1], off
	global_load_dwordx4 v[12:15], v[2:3], off
	global_load_dword v127, v[0:1], off offset:16
	v_and_b32_e32 v0, 0xffff, v9
	v_add_co_u32 v23, s0, s2, v8
	v_add_co_ci_u32_e64 v24, null, s3, 0, s0
	v_add_co_u32 v25, s0, s2, v0
	v_add_co_ci_u32_e64 v26, null, s3, 0, s0
	s_clause 0x4
	global_load_dword v115, v[2:3], off offset:16
	global_load_dwordx4 v[8:11], v[23:24], off
	global_load_dwordx4 v[0:3], v[25:26], off
	global_load_dword v113, v[23:24], off offset:16
	global_load_dword v112, v[25:26], off offset:16
	v_mov_b32_e32 v25, 36
	ds_read2_b32 v[23:24], v106 offset0:64 offset1:208
	v_mad_u16 v6, v6, 36, v7
	v_mad_u16 v21, v20, 36, v21
	v_mov_b32_e32 v20, 0xe38f
	v_mul_u32_u24_sdwa v22, v22, v25 dst_sel:DWORD dst_unused:UNUSED_PAD src0_sel:WORD_0 src1_sel:DWORD
	ds_read2_b32 v[25:26], v105 offset1:144
	ds_read2_b32 v[27:28], v104 offset0:64 offset1:208
	ds_read2_b32 v[29:30], v103 offset1:144
	ds_read2_b32 v[33:34], v102 offset0:64 offset1:208
	;; [unrolled: 2-line block ×3, first 2 shown]
	ds_read2_b32 v[39:40], v88 offset0:96 offset1:240
	ds_read2_b32 v[41:42], v86 offset0:32 offset1:176
	ds_read2_b32 v[43:44], v84 offset0:96 offset1:240
	ds_read2_b32 v[45:46], v82 offset0:32 offset1:176
	ds_read2_b32 v[47:48], v81 offset0:96 offset1:240
	v_add_lshl_u32 v116, v22, v31, 2
	v_lshlrev_b32_sdwa v114, v53, v6 dst_sel:DWORD dst_unused:UNUSED_PAD src0_sel:DWORD src1_sel:WORD_0
	s_waitcnt vmcnt(0) lgkmcnt(0)
	s_barrier
	buffer_gl0_inv
	v_mul_lo_u16 v5, v5, 57
	v_lshrrev_b32_e32 v7, 16, v23
	v_lshrrev_b32_e32 v22, 16, v24
	;; [unrolled: 1-line block ×24, first 2 shown]
	v_mul_f16_sdwa v129, v7, v16 dst_sel:DWORD dst_unused:UNUSED_PAD src0_sel:DWORD src1_sel:WORD_1
	v_mul_f16_sdwa v131, v23, v16 dst_sel:DWORD dst_unused:UNUSED_PAD src0_sel:DWORD src1_sel:WORD_1
	;; [unrolled: 1-line block ×33, first 2 shown]
	v_fma_f16 v23, v23, v16, -v129
	v_fma_f16 v25, v25, v17, -v133
	;; [unrolled: 1-line block ×8, first 2 shown]
	v_fmac_f16_e32 v131, v7, v16
	v_fmac_f16_e32 v135, v31, v17
	;; [unrolled: 1-line block ×6, first 2 shown]
	v_mul_f16_sdwa v155, v41, v9 dst_sel:DWORD dst_unused:UNUSED_PAD src0_sel:DWORD src1_sel:WORD_1
	v_mul_f16_sdwa v165, v125, v113 dst_sel:DWORD dst_unused:UNUSED_PAD src0_sel:DWORD src1_sel:WORD_1
	;; [unrolled: 1-line block ×3, first 2 shown]
	v_fma_f16 v24, v24, v12, -v130
	v_fmac_f16_e32 v132, v22, v12
	v_fmac_f16_e32 v136, v51, v13
	;; [unrolled: 1-line block ×3, first 2 shown]
	v_mul_f16_sdwa v149, v63, v8 dst_sel:DWORD dst_unused:UNUSED_PAD src0_sel:DWORD src1_sel:WORD_1
	v_mul_f16_sdwa v150, v64, v0 dst_sel:DWORD dst_unused:UNUSED_PAD src0_sel:DWORD src1_sel:WORD_1
	;; [unrolled: 1-line block ×4, first 2 shown]
	v_fma_f16 v29, v29, v19, -v141
	v_fmac_f16_e32 v144, v58, v15
	v_fma_f16 v22, v41, v9, -v153
	v_fma_f16 v31, v42, v1, -v154
	;; [unrolled: 1-line block ×7, first 2 shown]
	v_fmac_f16_e32 v151, v63, v8
	v_fmac_f16_e32 v159, v67, v10
	;; [unrolled: 1-line block ×6, first 2 shown]
	v_add_f16_e32 v46, v26, v30
	v_add_f16_e32 v48, v28, v34
	;; [unrolled: 1-line block ×9, first 2 shown]
	v_fma_f16 v44, v47, v113, -v165
	v_fmac_f16_e32 v155, v65, v9
	v_fmac_f16_e32 v167, v125, v113
	v_add_f16_e32 v47, v36, v26
	v_add_f16_e32 v51, v24, v28
	;; [unrolled: 1-line block ×5, first 2 shown]
	v_fma_f16 v40, v40, v0, -v150
	v_fmac_f16_e32 v152, v64, v0
	v_fmac_f16_e32 v164, v124, v3
	v_sub_f16_e32 v57, v136, v144
	v_sub_f16_e32 v58, v140, v148
	;; [unrolled: 1-line block ×3, first 2 shown]
	v_add_f16_e32 v59, v25, v29
	v_sub_f16_e32 v25, v25, v29
	v_sub_f16_e32 v64, v135, v143
	;; [unrolled: 1-line block ×4, first 2 shown]
	v_add_f16_e32 v126, v136, v144
	v_add_f16_e32 v133, v7, v45
	;; [unrolled: 1-line block ×3, first 2 shown]
	v_fmac_f16_e32 v36, -0.5, v46
	v_fmac_f16_e32 v24, -0.5, v48
	;; [unrolled: 1-line block ×3, first 2 shown]
	v_add_f16_e32 v29, v60, v29
	v_add_f16_e32 v46, v63, v143
	;; [unrolled: 1-line block ×4, first 2 shown]
	v_fmac_f16_e32 v23, -0.5, v67
	v_fmac_f16_e32 v131, -0.5, v123
	v_sub_f16_e32 v26, v26, v30
	v_fmac_f16_e32 v62, -0.5, v65
	v_add_f16_e32 v55, v125, v144
	v_add_f16_e32 v34, v51, v34
	;; [unrolled: 1-line block ×6, first 2 shown]
	v_sub_f16_e32 v138, v160, v168
	v_sub_f16_e32 v7, v7, v45
	v_fma_f16 v35, -0.5, v59, v35
	v_fmac_f16_e32 v61, -0.5, v126
	v_fmac_f16_e32 v40, -0.5, v133
	;; [unrolled: 1-line block ×3, first 2 shown]
	v_fmamk_f16 v47, v57, 0x3aee, v36
	v_fmac_f16_e32 v36, 0xbaee, v57
	v_fmamk_f16 v56, v58, 0x3aee, v24
	v_fmac_f16_e32 v24, 0xbaee, v58
	;; [unrolled: 2-line block ×3, first 2 shown]
	v_add_f16_e32 v28, v29, v33
	v_add_f16_e32 v58, v46, v48
	v_fmamk_f16 v59, v27, 0xbaee, v131
	v_fmamk_f16 v60, v124, 0x3aee, v23
	v_fmac_f16_e32 v23, 0xbaee, v124
	v_fmac_f16_e32 v131, 0x3aee, v27
	v_fmamk_f16 v65, v25, 0xbaee, v62
	v_fmac_f16_e32 v62, 0x3aee, v25
	v_sub_f16_e32 v25, v29, v33
	v_sub_f16_e32 v27, v46, v48
	v_add_f16_e32 v29, v30, v34
	v_add_f16_e32 v33, v55, v51
	;; [unrolled: 1-line block ×3, first 2 shown]
	v_fmamk_f16 v46, v26, 0xbaee, v61
	v_fmac_f16_e32 v61, 0x3aee, v26
	v_sub_f16_e32 v26, v30, v34
	v_sub_f16_e32 v30, v55, v51
	v_fmamk_f16 v48, v138, 0x3aee, v40
	v_fmac_f16_e32 v40, 0xbaee, v138
	v_fmamk_f16 v51, v7, 0xbaee, v152
	v_fmac_f16_e32 v152, 0x3aee, v7
	v_mul_f16_e32 v7, -0.5, v24
	v_pack_b32_f16 v28, v28, v58
	v_mul_f16_e32 v55, 0x3aee, v59
	v_mul_f16_e32 v58, 0xbaee, v60
	v_fmamk_f16 v63, v64, 0x3aee, v35
	v_fmac_f16_e32 v35, 0xbaee, v64
	v_mul_f16_e32 v64, -0.5, v23
	v_mul_f16_e32 v66, -0.5, v131
	v_pack_b32_f16 v25, v25, v27
	v_pack_b32_f16 v27, v29, v33
	v_mul_f16_e32 v29, 0x3aee, v57
	v_mul_f16_e32 v33, 0xbaee, v56
	v_mul_f16_e32 v67, -0.5, v132
	v_add_f16_e32 v130, v38, v31
	v_sub_f16_e32 v137, v156, v164
	v_fmac_f16_e32 v38, -0.5, v129
	v_pack_b32_f16 v26, v26, v30
	v_mul_f16_e32 v30, -0.5, v40
	v_fmac_f16_e32 v7, 0x3aee, v132
	v_fmac_f16_e32 v55, 0.5, v60
	v_fmac_f16_e32 v58, 0.5, v59
	v_fmac_f16_e32 v64, 0x3aee, v131
	v_fmac_f16_e32 v66, 0xbaee, v23
	v_fmac_f16_e32 v29, 0.5, v56
	v_fmac_f16_e32 v33, 0.5, v57
	v_fmac_f16_e32 v67, 0xbaee, v24
	v_fmamk_f16 v34, v137, 0x3aee, v38
	v_fmac_f16_e32 v38, 0xbaee, v137
	v_fmac_f16_e32 v30, 0x3aee, v152
	v_add_f16_e32 v23, v36, v7
	v_sub_f16_e32 v24, v36, v7
	v_add_f16_e32 v36, v63, v55
	v_add_f16_e32 v56, v65, v58
	;; [unrolled: 1-line block ×4, first 2 shown]
	v_sub_f16_e32 v55, v63, v55
	v_sub_f16_e32 v35, v35, v64
	;; [unrolled: 1-line block ×4, first 2 shown]
	v_add_f16_e32 v62, v47, v29
	v_add_f16_e32 v63, v46, v33
	;; [unrolled: 1-line block ×3, first 2 shown]
	v_sub_f16_e32 v33, v46, v33
	v_sub_f16_e32 v46, v61, v67
	v_add_f16_e32 v141, v159, v167
	v_sub_f16_e32 v29, v47, v29
	v_add_f16_e32 v47, v38, v30
	v_sub_f16_e32 v7, v38, v30
	v_pack_b32_f16 v30, v36, v56
	v_pack_b32_f16 v36, v57, v59
	;; [unrolled: 1-line block ×7, first 2 shown]
	v_fma_f16 v39, v39, v8, -v149
	v_pack_b32_f16 v29, v29, v33
	ds_write2_b32 v116, v28, v30 offset1:6
	ds_write2_b32 v116, v36, v25 offset0:12 offset1:18
	ds_write2_b32 v116, v38, v35 offset0:24 offset1:30
	ds_write2_b32 v114, v27, v55 offset1:6
	ds_write2_b32 v114, v23, v26 offset0:12 offset1:18
	ds_write2_b32 v114, v29, v24 offset0:24 offset1:30
	v_add_f16_e32 v23, v41, v44
	v_add_f16_e32 v24, v151, v159
	v_fmac_f16_e32 v151, -0.5, v141
	v_sub_f16_e32 v26, v41, v44
	v_add_f16_e32 v140, v37, v22
	v_add_f16_e32 v25, v39, v41
	v_fmac_f16_e32 v39, -0.5, v23
	v_sub_f16_e32 v23, v159, v167
	v_add_f16_e32 v27, v128, v155
	v_add_f16_e32 v28, v155, v163
	v_fmamk_f16 v30, v26, 0xbaee, v151
	v_add_f16_e32 v25, v25, v44
	v_fmamk_f16 v33, v23, 0x3aee, v39
	v_add_f16_e32 v27, v27, v163
	v_fmac_f16_e32 v128, -0.5, v28
	v_add_f16_e32 v28, v140, v42
	v_mul_f16_e32 v35, 0x3aee, v30
	v_add_f16_e32 v24, v24, v167
	v_add_f16_e32 v139, v22, v42
	v_mul_f16_e32 v36, 0xbaee, v33
	v_fmac_f16_e32 v39, 0xbaee, v23
	v_fmac_f16_e32 v35, 0.5, v33
	v_add_f16_e32 v33, v28, v25
	v_add_f16_e32 v38, v27, v24
	v_fmac_f16_e32 v151, 0x3aee, v26
	v_fma_f16 v37, -0.5, v139, v37
	v_sub_f16_e32 v29, v155, v163
	v_sub_f16_e32 v22, v22, v42
	v_pack_b32_f16 v26, v33, v38
	v_mul_f16_e32 v38, -0.5, v39
	v_mul_f16_e32 v42, -0.5, v151
	v_fmac_f16_e32 v36, 0.5, v30
	v_fmamk_f16 v41, v29, 0x3aee, v37
	v_fmamk_f16 v23, v22, 0xbaee, v128
	v_fmac_f16_e32 v37, 0xbaee, v29
	v_fmac_f16_e32 v128, 0x3aee, v22
	v_fmac_f16_e32 v38, 0x3aee, v151
	v_fmac_f16_e32 v42, 0xbaee, v39
	v_add_f16_e32 v33, v41, v35
	v_add_f16_e32 v44, v23, v36
	v_mad_u16 v30, v49, 36, v50
	v_sub_f16_e32 v25, v28, v25
	v_sub_f16_e32 v24, v27, v24
	v_add_f16_e32 v27, v37, v38
	v_add_f16_e32 v28, v128, v42
	v_pack_b32_f16 v22, v33, v44
	v_sub_f16_e32 v29, v41, v35
	v_sub_f16_e32 v33, v37, v38
	;; [unrolled: 1-line block ×4, first 2 shown]
	v_lshlrev_b32_sdwa v124, v53, v30 dst_sel:DWORD dst_unused:UNUSED_PAD src0_sel:DWORD src1_sel:WORD_0
	v_pack_b32_f16 v27, v27, v28
	v_pack_b32_f16 v24, v25, v24
	;; [unrolled: 1-line block ×4, first 2 shown]
	v_add_f16_e32 v28, v6, v156
	v_add_f16_e32 v29, v156, v164
	ds_write2_b32 v124, v26, v22 offset1:6
	ds_write2_b32 v124, v27, v24 offset0:12 offset1:18
	ds_write2_b32 v124, v23, v25 offset0:24 offset1:30
	v_add_f16_e32 v23, v130, v43
	v_add_f16_e32 v26, v134, v45
	;; [unrolled: 1-line block ×3, first 2 shown]
	v_fmac_f16_e32 v6, -0.5, v29
	v_mul_f16_e32 v25, 0xbaee, v48
	v_sub_f16_e32 v27, v31, v43
	v_add_f16_e32 v28, v136, v168
	v_mul_f16_e32 v33, -0.5, v152
	v_mul_f16_e32 v24, 0x3aee, v51
	v_add_f16_e32 v29, v23, v26
	v_lshlrev_b32_sdwa v128, v53, v21 dst_sel:DWORD dst_unused:UNUSED_PAD src0_sel:DWORD src1_sel:WORD_0
	v_sub_f16_e32 v21, v23, v26
	v_mul_u32_u24_sdwa v26, v54, v20 dst_sel:DWORD dst_unused:UNUSED_PAD src0_sel:WORD_0 src1_sel:DWORD
	v_fmac_f16_e32 v25, 0.5, v51
	v_fmamk_f16 v30, v27, 0xbaee, v6
	v_add_f16_e32 v31, v22, v28
	v_fmac_f16_e32 v6, 0x3aee, v27
	v_fmac_f16_e32 v33, 0xbaee, v40
	v_sub_f16_e32 v22, v22, v28
	v_lshrrev_b16 v42, 11, v5
	v_fmac_f16_e32 v24, 0.5, v48
	v_lshrrev_b32_e32 v37, 21, v26
	v_add_f16_e32 v36, v30, v25
	v_add_f16_e32 v23, v6, v33
	v_pack_b32_f16 v21, v21, v22
	v_sub_f16_e32 v22, v30, v25
	v_sub_f16_e32 v6, v6, v33
	v_mul_lo_u16 v25, v42, 36
	v_mul_u32_u24_sdwa v26, v4, v20 dst_sel:DWORD dst_unused:UNUSED_PAD src0_sel:WORD_0 src1_sel:DWORD
	v_add_f16_e32 v35, v34, v24
	v_sub_f16_e32 v5, v34, v24
	v_mul_lo_u16 v24, v37, 36
	v_mul_u32_u24_sdwa v20, v32, v20 dst_sel:DWORD dst_unused:UNUSED_PAD src0_sel:WORD_0 src1_sel:DWORD
	v_pack_b32_f16 v6, v7, v6
	v_sub_nc_u16 v7, v52, v25
	v_lshrrev_b32_e32 v33, 21, v26
	v_pack_b32_f16 v23, v47, v23
	v_sub_nc_u16 v43, v54, v24
	v_lshrrev_b32_e32 v34, 21, v20
	v_and_b32_e32 v46, 0xff, v7
	v_mul_lo_u16 v7, v33, 36
	ds_write2_b32 v128, v23, v21 offset0:12 offset1:18
	v_mul_lo_u16 v21, v43, 20
	v_pack_b32_f16 v5, v5, v22
	v_mul_lo_u16 v22, v34, 36
	v_pack_b32_f16 v27, v35, v36
	v_sub_nc_u16 v36, v4, v7
	v_and_b32_e32 v20, 0xffff, v21
	ds_write2_b32 v128, v5, v6 offset0:24 offset1:30
	v_sub_nc_u16 v35, v32, v22
	v_mad_u64_u32 v[5:6], null, v46, 20, s[2:3]
	v_mul_lo_u16 v4, v36, 20
	v_add_co_u32 v20, s0, s2, v20
	v_pack_b32_f16 v29, v29, v31
	v_mul_lo_u16 v7, v35, 20
	v_add_co_ci_u32_e64 v21, null, s3, 0, s0
	v_and_b32_e32 v4, 0xffff, v4
	ds_write2_b32 v128, v29, v27 offset1:6
	s_waitcnt lgkmcnt(0)
	s_barrier
	buffer_gl0_inv
	s_clause 0x2
	global_load_dwordx4 v[28:31], v[5:6], off offset:120
	global_load_dwordx4 v[24:27], v[20:21], off offset:120
	global_load_dword v130, v[5:6], off offset:136
	v_and_b32_e32 v5, 0xffff, v7
	v_add_co_u32 v38, s0, s2, v4
	v_add_co_ci_u32_e64 v39, null, s3, 0, s0
	v_add_co_u32 v40, s0, s2, v5
	v_add_co_ci_u32_e64 v41, null, s3, 0, s0
	s_clause 0x4
	global_load_dword v125, v[20:21], off offset:136
	global_load_dwordx4 v[20:23], v[38:39], off offset:120
	global_load_dwordx4 v[4:7], v[40:41], off offset:120
	global_load_dword v123, v[38:39], off offset:136
	global_load_dword v121, v[40:41], off offset:136
	v_mov_b32_e32 v40, 0xd8
	ds_read2_b32 v[38:39], v106 offset0:64 offset1:208
	v_mad_u16 v37, 0xd8, v37, v43
	v_mad_u16 v33, 0xd8, v33, v36
	;; [unrolled: 1-line block ×3, first 2 shown]
	v_mul_u32_u24_sdwa v47, v42, v40 dst_sel:DWORD dst_unused:UNUSED_PAD src0_sel:WORD_0 src1_sel:DWORD
	ds_read2_b32 v[40:41], v105 offset1:144
	ds_read2_b32 v[42:43], v104 offset0:64 offset1:208
	ds_read2_b32 v[44:45], v103 offset1:144
	v_lshlrev_b32_sdwa v129, v53, v37 dst_sel:DWORD dst_unused:UNUSED_PAD src0_sel:DWORD src1_sel:WORD_0
	v_add_lshl_u32 v126, v47, v46, 2
	ds_read2_b32 v[46:47], v102 offset0:64 offset1:208
	ds_read2_b32 v[48:49], v88 offset0:96 offset1:240
	;; [unrolled: 1-line block ×5, first 2 shown]
	ds_read2_b32 v[59:60], v99 offset1:144
	ds_read2_b32 v[61:62], v81 offset0:96 offset1:240
	ds_read2_b32 v[63:64], v91 offset0:32 offset1:176
	s_waitcnt vmcnt(0) lgkmcnt(0)
	s_barrier
	buffer_gl0_inv
	v_lshrrev_b32_e32 v37, 16, v38
	v_lshrrev_b32_e32 v65, 16, v39
	;; [unrolled: 1-line block ×22, first 2 shown]
	v_mul_f16_sdwa v149, v37, v28 dst_sel:DWORD dst_unused:UNUSED_PAD src0_sel:DWORD src1_sel:WORD_1
	v_mul_f16_sdwa v150, v65, v24 dst_sel:DWORD dst_unused:UNUSED_PAD src0_sel:DWORD src1_sel:WORD_1
	;; [unrolled: 1-line block ×22, first 2 shown]
	v_fma_f16 v38, v38, v28, -v149
	v_fma_f16 v39, v39, v24, -v150
	;; [unrolled: 1-line block ×9, first 2 shown]
	v_fmac_f16_e32 v151, v37, v28
	v_fmac_f16_e32 v155, v66, v29
	;; [unrolled: 1-line block ×10, first 2 shown]
	v_fma_f16 v44, v44, v31, -v161
	v_mul_f16_sdwa v169, v137, v20 dst_sel:DWORD dst_unused:UNUSED_PAD src0_sel:DWORD src1_sel:WORD_1
	v_mul_f16_sdwa v172, v139, v21 dst_sel:DWORD dst_unused:UNUSED_PAD src0_sel:DWORD src1_sel:WORD_1
	v_fmac_f16_e32 v171, v137, v20
	v_fmac_f16_e32 v175, v139, v21
	v_add_f16_e32 v37, v41, v45
	v_add_f16_e32 v65, v60, v41
	v_add_f16_e32 v66, v43, v47
	v_add_f16_e32 v67, v39, v43
	v_add_f16_e32 v131, v160, v168
	v_add_f16_e32 v132, v152, v160
	v_add_f16_e32 v133, v59, v40
	v_add_f16_e32 v135, v146, v155
	v_sub_f16_e32 v136, v155, v163
	v_add_f16_e32 v137, v155, v163
	v_add_f16_e32 v139, v38, v42
	;; [unrolled: 1-line block ×6, first 2 shown]
	v_sub_f16_e32 v157, v156, v164
	v_add_f16_e32 v156, v156, v164
	v_add_f16_e32 v134, v40, v44
	v_sub_f16_e32 v40, v40, v44
	v_sub_f16_e32 v42, v42, v46
	;; [unrolled: 1-line block ×5, first 2 shown]
	v_fmac_f16_e32 v60, -0.5, v37
	v_fmac_f16_e32 v39, -0.5, v66
	;; [unrolled: 1-line block ×3, first 2 shown]
	v_add_f16_e32 v37, v133, v44
	v_add_f16_e32 v44, v135, v163
	;; [unrolled: 1-line block ×4, first 2 shown]
	v_fmac_f16_e32 v146, -0.5, v137
	v_fmac_f16_e32 v38, -0.5, v149
	;; [unrolled: 1-line block ×3, first 2 shown]
	v_add_f16_e32 v131, v155, v164
	v_add_f16_e32 v47, v67, v47
	v_add_f16_e32 v67, v132, v168
	v_add_f16_e32 v45, v65, v45
	v_fmac_f16_e32 v145, -0.5, v156
	v_sub_f16_e32 v158, v160, v168
	v_fma_f16 v59, -0.5, v134, v59
	v_fmamk_f16 v134, v154, 0x3aee, v38
	v_fmac_f16_e32 v38, 0xbaee, v154
	v_fmamk_f16 v135, v40, 0xbaee, v146
	v_fmac_f16_e32 v146, 0x3aee, v40
	;; [unrolled: 2-line block ×3, first 2 shown]
	v_add_f16_e32 v42, v37, v46
	v_sub_f16_e32 v37, v37, v46
	v_add_f16_e32 v46, v44, v66
	v_sub_f16_e32 v44, v44, v66
	v_fmamk_f16 v66, v41, 0xbaee, v145
	v_fmac_f16_e32 v145, 0x3aee, v41
	v_add_f16_e32 v41, v45, v47
	v_sub_f16_e32 v45, v45, v47
	v_sub_f16_e32 v47, v131, v67
	v_fmamk_f16 v132, v158, 0x3aee, v39
	v_fmac_f16_e32 v39, 0xbaee, v158
	v_fmamk_f16 v133, v43, 0xbaee, v152
	v_fmac_f16_e32 v152, 0x3aee, v43
	;; [unrolled: 2-line block ×3, first 2 shown]
	v_add_f16_e32 v136, v131, v67
	v_pack_b32_f16 v42, v42, v46
	v_pack_b32_f16 v37, v37, v44
	v_mul_f16_e32 v44, 0x3aee, v40
	v_pack_b32_f16 v45, v45, v47
	v_mul_f16_e32 v46, 0xbaee, v134
	v_mul_f16_e32 v47, -0.5, v38
	v_pack_b32_f16 v41, v41, v136
	v_mul_f16_e32 v67, -0.5, v151
	v_mul_f16_e32 v136, -0.5, v39
	v_mul_f16_e32 v131, 0x3aee, v133
	v_mul_f16_e32 v137, 0xbaee, v132
	v_mul_f16_e32 v139, -0.5, v152
	v_fmac_f16_e32 v44, 0.5, v134
	v_fmac_f16_e32 v46, 0.5, v40
	v_fmac_f16_e32 v47, 0x3aee, v151
	v_fmamk_f16 v65, v157, 0x3aee, v60
	v_fmac_f16_e32 v60, 0xbaee, v157
	v_fmac_f16_e32 v136, 0x3aee, v152
	;; [unrolled: 1-line block ×3, first 2 shown]
	v_fmac_f16_e32 v131, 0.5, v132
	v_fmac_f16_e32 v137, 0.5, v133
	v_fmac_f16_e32 v139, 0xbaee, v39
	v_add_f16_e32 v40, v43, v44
	v_sub_f16_e32 v43, v43, v44
	v_add_f16_e32 v44, v59, v47
	v_sub_f16_e32 v47, v59, v47
	v_add_f16_e32 v59, v135, v46
	v_add_f16_e32 v38, v60, v136
	v_sub_f16_e32 v39, v60, v136
	v_add_f16_e32 v60, v146, v67
	v_sub_f16_e32 v46, v135, v46
	v_sub_f16_e32 v67, v146, v67
	v_add_f16_e32 v132, v65, v131
	v_sub_f16_e32 v65, v65, v131
	v_add_f16_e32 v131, v66, v137
	v_add_f16_e32 v133, v145, v139
	v_sub_f16_e32 v134, v145, v139
	v_mul_f16_sdwa v178, v142, v6 dst_sel:DWORD dst_unused:UNUSED_PAD src0_sel:DWORD src1_sel:WORD_1
	v_mul_f16_sdwa v186, v147, v121 dst_sel:DWORD dst_unused:UNUSED_PAD src0_sel:DWORD src1_sel:WORD_1
	v_sub_f16_e32 v66, v66, v137
	v_pack_b32_f16 v40, v40, v59
	v_pack_b32_f16 v44, v44, v60
	;; [unrolled: 1-line block ×7, first 2 shown]
	v_mul_f16_sdwa v170, v138, v4 dst_sel:DWORD dst_unused:UNUSED_PAD src0_sel:DWORD src1_sel:WORD_1
	v_mul_f16_sdwa v173, v140, v5 dst_sel:DWORD dst_unused:UNUSED_PAD src0_sel:DWORD src1_sel:WORD_1
	;; [unrolled: 1-line block ×4, first 2 shown]
	v_fma_f16 v56, v56, v6, -v178
	v_pack_b32_f16 v59, v65, v66
	ds_write2_b32 v126, v42, v40 offset1:36
	ds_write2_b32 v126, v44, v37 offset0:72 offset1:108
	ds_write2_b32 v126, v43, v46 offset0:144 offset1:180
	ds_write2_b32 v129, v41, v47 offset1:36
	ds_write2_b32 v129, v38, v45 offset0:72 offset1:108
	ds_write2_b32 v129, v59, v39 offset0:144 offset1:180
	v_fma_f16 v38, v62, v121, -v186
	v_mul_f16_sdwa v39, v62, v121 dst_sel:DWORD dst_unused:UNUSED_PAD src0_sel:DWORD src1_sel:WORD_1
	v_mul_f16_sdwa v174, v49, v4 dst_sel:DWORD dst_unused:UNUSED_PAD src0_sel:DWORD src1_sel:WORD_1
	;; [unrolled: 1-line block ×5, first 2 shown]
	v_fma_f16 v49, v49, v4, -v170
	v_fma_f16 v51, v51, v5, -v173
	;; [unrolled: 1-line block ×3, first 2 shown]
	v_fmac_f16_e32 v180, v142, v6
	v_fmac_f16_e32 v39, v147, v121
	v_add_f16_e32 v40, v56, v38
	v_mul_f16_sdwa v177, v141, v22 dst_sel:DWORD dst_unused:UNUSED_PAD src0_sel:DWORD src1_sel:WORD_1
	v_mul_f16_sdwa v179, v55, v22 dst_sel:DWORD dst_unused:UNUSED_PAD src0_sel:DWORD src1_sel:WORD_1
	;; [unrolled: 1-line block ×4, first 2 shown]
	v_fma_f16 v50, v50, v21, -v172
	v_fma_f16 v57, v57, v23, -v181
	v_mul_f16_sdwa v37, v148, v123 dst_sel:DWORD dst_unused:UNUSED_PAD src0_sel:DWORD src1_sel:WORD_1
	v_fmac_f16_e32 v174, v138, v4
	v_fmac_f16_e32 v176, v140, v5
	;; [unrolled: 1-line block ×3, first 2 shown]
	v_add_f16_e32 v41, v51, v58
	v_add_f16_e32 v43, v49, v56
	;; [unrolled: 1-line block ×3, first 2 shown]
	v_fmac_f16_e32 v49, -0.5, v40
	v_sub_f16_e32 v40, v180, v39
	v_fma_f16 v55, v55, v22, -v177
	v_fmac_f16_e32 v179, v141, v22
	v_fmac_f16_e32 v185, v148, v123
	v_lshrrev_b32_e32 v42, 16, v64
	v_add_f16_e32 v45, v64, v51
	v_add_f16_e32 v46, v174, v180
	v_fmac_f16_e32 v174, -0.5, v44
	v_sub_f16_e32 v44, v56, v38
	v_fmamk_f16 v47, v40, 0x3aee, v49
	v_fmac_f16_e32 v49, 0xbaee, v40
	v_fmac_f16_e32 v64, -0.5, v41
	v_sub_f16_e32 v40, v176, v184
	v_add_f16_e32 v56, v50, v57
	v_fma_f16 v37, v61, v123, -v37
	v_fma_f16 v48, v48, v20, -v169
	v_fmac_f16_e32 v183, v143, v23
	v_fmamk_f16 v59, v40, 0x3aee, v64
	v_fmac_f16_e32 v64, 0xbaee, v40
	v_fma_f16 v40, -0.5, v56, v63
	v_add_f16_e32 v56, v179, v185
	v_add_f16_e32 v62, v55, v37
	v_lshrrev_b32_e32 v60, 16, v63
	v_add_f16_e32 v61, v63, v50
	v_add_f16_e32 v63, v171, v179
	v_fmac_f16_e32 v171, -0.5, v56
	v_add_f16_e32 v56, v48, v55
	v_sub_f16_e32 v55, v55, v37
	v_fmac_f16_e32 v48, -0.5, v62
	v_sub_f16_e32 v62, v179, v185
	v_add_f16_e32 v65, v60, v175
	v_add_f16_e32 v66, v175, v183
	v_fmamk_f16 v131, v55, 0xbaee, v171
	v_sub_f16_e32 v67, v175, v183
	v_fmamk_f16 v132, v62, 0x3aee, v48
	v_add_f16_e32 v65, v65, v183
	v_fmac_f16_e32 v60, -0.5, v66
	v_add_f16_e32 v61, v61, v57
	v_mul_f16_e32 v66, 0x3aee, v131
	v_mul_f16_e32 v133, 0xbaee, v132
	v_sub_f16_e32 v50, v50, v57
	v_add_f16_e32 v37, v56, v37
	v_add_f16_e32 v56, v63, v185
	v_fmac_f16_e32 v48, 0xbaee, v62
	v_fmac_f16_e32 v171, 0x3aee, v55
	v_fmac_f16_e32 v66, 0.5, v132
	v_fmac_f16_e32 v133, 0.5, v131
	v_add_f16_e32 v36, v61, v37
	v_add_f16_e32 v57, v65, v56
	v_fmamk_f16 v63, v67, 0x3aee, v40
	v_fmamk_f16 v55, v50, 0xbaee, v60
	v_mul_f16_e32 v62, -0.5, v48
	v_mul_f16_e32 v132, -0.5, v171
	v_pack_b32_f16 v36, v36, v57
	v_add_f16_e32 v57, v63, v66
	v_add_f16_e32 v131, v55, v133
	v_fmac_f16_e32 v40, 0xbaee, v67
	v_fmac_f16_e32 v60, 0x3aee, v50
	;; [unrolled: 1-line block ×4, first 2 shown]
	v_pack_b32_f16 v48, v57, v131
	v_lshlrev_b32_sdwa v131, v53, v33 dst_sel:DWORD dst_unused:UNUSED_PAD src0_sel:DWORD src1_sel:WORD_0
	v_sub_f16_e32 v33, v61, v37
	v_add_f16_e32 v37, v40, v62
	v_add_f16_e32 v50, v60, v132
	v_sub_f16_e32 v56, v65, v56
	v_fmamk_f16 v41, v44, 0xbaee, v174
	ds_write2_b32 v131, v36, v48 offset1:36
	v_sub_f16_e32 v40, v40, v62
	v_pack_b32_f16 v36, v37, v50
	v_pack_b32_f16 v33, v33, v56
	v_sub_f16_e32 v50, v60, v132
	v_sub_f16_e32 v37, v63, v66
	v_sub_f16_e32 v48, v55, v133
	v_add_f16_e32 v55, v42, v176
	v_add_f16_e32 v56, v176, v184
	ds_write2_b32 v131, v36, v33 offset0:72 offset1:108
	v_pack_b32_f16 v36, v40, v50
	v_add_f16_e32 v40, v45, v58
	v_mul_f16_e32 v45, 0x3aee, v41
	v_fmac_f16_e32 v174, 0x3aee, v44
	v_pack_b32_f16 v33, v37, v48
	v_add_f16_e32 v37, v55, v184
	v_fmac_f16_e32 v42, -0.5, v56
	v_mul_f16_e32 v48, 0xbaee, v47
	v_sub_f16_e32 v50, v51, v58
	v_add_f16_e32 v38, v43, v38
	v_add_f16_e32 v39, v46, v39
	v_fmac_f16_e32 v45, 0.5, v47
	v_mul_f16_e32 v44, -0.5, v49
	v_mul_f16_e32 v47, -0.5, v174
	v_fmac_f16_e32 v48, 0.5, v41
	v_fmamk_f16 v41, v50, 0xbaee, v42
	v_add_f16_e32 v43, v40, v38
	v_add_f16_e32 v46, v37, v39
	v_add_f16_e32 v51, v59, v45
	v_sub_f16_e32 v38, v40, v38
	v_sub_f16_e32 v37, v37, v39
	;; [unrolled: 1-line block ×3, first 2 shown]
	v_mov_b32_e32 v56, 0x12f7
	v_lshrrev_b16 v45, 3, v32
	v_fmac_f16_e32 v44, 0x3aee, v174
	v_fmac_f16_e32 v42, 0x3aee, v50
	;; [unrolled: 1-line block ×3, first 2 shown]
	v_add_f16_e32 v55, v41, v48
	v_pack_b32_f16 v37, v38, v37
	v_mul_u32_u24_sdwa v38, v45, v56 dst_sel:DWORD dst_unused:UNUSED_PAD src0_sel:WORD_0 src1_sel:DWORD
	v_add_f16_e32 v57, v64, v44
	v_add_f16_e32 v39, v42, v47
	v_pack_b32_f16 v35, v43, v46
	v_pack_b32_f16 v43, v51, v55
	v_lshlrev_b32_sdwa v136, v53, v34 dst_sel:DWORD dst_unused:UNUSED_PAD src0_sel:DWORD src1_sel:WORD_0
	v_lshrrev_b32_e32 v38, 17, v38
	v_pack_b32_f16 v34, v57, v39
	ds_write2_b32 v131, v33, v36 offset0:144 offset1:180
	v_add_nc_u32_e32 v33, 0xffffffb8, v96
	ds_write2_b32 v136, v35, v43 offset1:36
	ds_write2_b32 v136, v34, v37 offset0:72 offset1:108
	v_mul_lo_u16 v34, 0xd8, v38
	v_sub_f16_e32 v44, v64, v44
	v_cndmask_b32_e32 v64, v33, v54, vcc_lo
	v_sub_f16_e32 v41, v41, v48
	v_sub_f16_e32 v42, v42, v47
	v_sub_nc_u16 v55, v32, v34
	v_mad_u64_u32 v[50:51], null, v96, 12, s[2:3]
	v_mul_i32_i24_e32 v32, 12, v64
	v_mul_hi_i32_i24_e32 v33, 12, v64
	v_mul_lo_u16 v34, v55, 12
	v_pack_b32_f16 v39, v40, v41
	v_pack_b32_f16 v40, v44, v42
	v_add_co_u32 v32, vcc_lo, s2, v32
	v_add_co_ci_u32_e32 v33, vcc_lo, s3, v33, vcc_lo
	v_and_b32_e32 v34, 0xffff, v34
	ds_write2_b32 v136, v39, v40 offset0:144 offset1:180
	s_waitcnt lgkmcnt(0)
	s_barrier
	buffer_gl0_inv
	s_clause 0x1
	global_load_dwordx3 v[47:49], v[50:51], off offset:840
	global_load_dwordx3 v[44:46], v[32:33], off offset:840
	v_add_co_u32 v32, s0, s2, v34
	v_add_co_ci_u32_e64 v33, null, s3, 0, s0
	s_clause 0x1
	global_load_dwordx3 v[41:43], v[50:51], off offset:1704
	global_load_dwordx3 v[38:40], v[32:33], off offset:840
	v_add_nc_u16 v32, v52, 0x240
	v_add_nc_u16 v34, v52, 0x2d0
	v_cmp_lt_u16_e32 vcc_lo, 0x47, v52
	v_add_nc_u32_e32 v133, 0x680, v99
	v_add_nc_u32_e32 v135, 0x1500, v99
	v_lshrrev_b16 v33, 3, v32
	v_lshrrev_b16 v35, 3, v34
	v_cndmask_b32_e64 v52, 0, 0x360, vcc_lo
	v_add_nc_u32_e32 v134, 0xe80, v99
	v_lshlrev_b32_sdwa v55, v53, v55 dst_sel:DWORD dst_unused:UNUSED_PAD src0_sel:DWORD src1_sel:WORD_0
	v_mul_u32_u24_sdwa v33, v33, v56 dst_sel:DWORD dst_unused:UNUSED_PAD src0_sel:WORD_0 src1_sel:DWORD
	v_mul_u32_u24_sdwa v56, v35, v56 dst_sel:DWORD dst_unused:UNUSED_PAD src0_sel:WORD_0 src1_sel:DWORD
	v_add_lshl_u32 v132, v64, v52, 2
	v_add_co_u32 v50, vcc_lo, 0x800, v50
	v_lshrrev_b32_e32 v142, 17, v33
	v_add_co_ci_u32_e32 v51, vcc_lo, 0, v51, vcc_lo
	v_add_nc_u32_e32 v137, 0x680, v132
	v_mul_lo_u16 v33, 0xd8, v142
	v_sub_nc_u16 v151, v32, v33
	v_mul_lo_u16 v32, v151, 12
	v_and_b32_e32 v32, 0xffff, v32
	v_add_co_u32 v32, s0, s2, v32
	v_add_co_ci_u32_e64 v33, null, s3, 0, s0
	global_load_dwordx3 v[35:37], v[32:33], off offset:840
	v_lshrrev_b32_e32 v32, 17, v56
	v_mul_lo_u16 v32, 0xd8, v32
	v_sub_nc_u16 v152, v34, v32
	v_mul_lo_u16 v32, v152, 12
	v_and_b32_e32 v32, 0xffff, v32
	v_add_co_u32 v32, s0, s2, v32
	v_add_co_ci_u32_e64 v33, null, s3, 0, s0
	global_load_dwordx3 v[32:34], v[32:33], off offset:840
	ds_read2_b32 v[56:57], v88 offset0:96 offset1:240
	ds_read2_b32 v[58:59], v82 offset0:32 offset1:176
	;; [unrolled: 1-line block ×3, first 2 shown]
	ds_read2_b32 v[62:63], v99 offset1:144
	ds_read2_b32 v[64:65], v105 offset1:144
	ds_read2_b32 v[66:67], v84 offset0:96 offset1:240
	ds_read2_b32 v[138:139], v91 offset0:32 offset1:176
	;; [unrolled: 1-line block ×5, first 2 shown]
	ds_read2_b32 v[147:148], v103 offset1:144
	ds_read2_b32 v[149:150], v81 offset0:96 offset1:240
	s_waitcnt vmcnt(0) lgkmcnt(0)
	s_barrier
	buffer_gl0_inv
	v_lshrrev_b32_e32 v162, 16, v66
	v_lshrrev_b32_e32 v52, 16, v56
	;; [unrolled: 1-line block ×16, first 2 shown]
	v_mul_f16_sdwa v168, v56, v47 dst_sel:DWORD dst_unused:UNUSED_PAD src0_sel:DWORD src1_sel:WORD_1
	v_mul_f16_sdwa v169, v52, v47 dst_sel:DWORD dst_unused:UNUSED_PAD src0_sel:DWORD src1_sel:WORD_1
	;; [unrolled: 1-line block ×12, first 2 shown]
	v_fma_f16 v56, v56, v47, -v169
	v_fmac_f16_e32 v168, v52, v47
	v_mul_f16_sdwa v52, v165, v40 dst_sel:DWORD dst_unused:UNUSED_PAD src0_sel:DWORD src1_sel:WORD_1
	v_fmac_f16_e32 v170, v153, v49
	v_fmac_f16_e32 v172, v154, v48
	v_fma_f16 v58, v58, v49, -v171
	v_fma_f16 v60, v60, v48, -v173
	;; [unrolled: 1-line block ×5, first 2 shown]
	v_fmac_f16_e32 v175, v156, v44
	v_fmac_f16_e32 v177, v157, v45
	;; [unrolled: 1-line block ×3, first 2 shown]
	v_mul_f16_sdwa v180, v160, v41 dst_sel:DWORD dst_unused:UNUSED_PAD src0_sel:DWORD src1_sel:WORD_1
	v_mul_f16_sdwa v182, v64, v41 dst_sel:DWORD dst_unused:UNUSED_PAD src0_sel:DWORD src1_sel:WORD_1
	;; [unrolled: 1-line block ×7, first 2 shown]
	v_fma_f16 v52, v141, v40, -v52
	v_sub_f16_e32 v58, v56, v58
	v_sub_f16_e32 v141, v168, v170
	;; [unrolled: 1-line block ×4, first 2 shown]
	v_mul_f16_sdwa v169, v67, v39 dst_sel:DWORD dst_unused:UNUSED_PAD src0_sel:DWORD src1_sel:WORD_1
	v_sub_f16_e32 v61, v63, v61
	v_sub_f16_e32 v59, v57, v59
	;; [unrolled: 1-line block ×4, first 2 shown]
	v_fma_f16 v64, v64, v41, -v180
	v_fma_f16 v66, v66, v42, -v184
	;; [unrolled: 1-line block ×3, first 2 shown]
	v_fmac_f16_e32 v182, v160, v41
	v_fmac_f16_e32 v153, v164, v43
	;; [unrolled: 1-line block ×3, first 2 shown]
	v_fma_f16 v56, v56, 2.0, -v58
	v_fma_f16 v162, v168, 2.0, -v141
	;; [unrolled: 1-line block ×4, first 2 shown]
	v_mul_f16_sdwa v185, v163, v39 dst_sel:DWORD dst_unused:UNUSED_PAD src0_sel:DWORD src1_sel:WORD_1
	v_fmac_f16_e32 v169, v163, v39
	v_add_f16_e32 v58, v156, v58
	v_sub_f16_e32 v141, v60, v141
	v_fma_f16 v63, v63, 2.0, -v61
	v_fma_f16 v57, v57, 2.0, -v59
	v_fma_f16 v163, v175, 2.0, -v157
	v_sub_f16_e32 v157, v61, v157
	v_add_f16_e32 v59, v158, v59
	v_fma_f16 v159, v159, 2.0, -v158
	v_sub_f16_e32 v66, v138, v66
	v_sub_f16_e32 v140, v64, v140
	;; [unrolled: 1-line block ×6, first 2 shown]
	v_fma_f16 v156, v156, 2.0, -v58
	v_fma_f16 v60, v60, 2.0, -v141
	v_pack_b32_f16 v58, v141, v58
	v_fma_f16 v61, v61, 2.0, -v157
	v_fma_f16 v141, v158, 2.0, -v59
	v_pack_b32_f16 v59, v157, v59
	v_sub_f16_e32 v57, v63, v57
	v_sub_f16_e32 v157, v159, v163
	v_fmac_f16_e32 v154, v165, v40
	v_fma_f16 v138, v138, 2.0, -v66
	v_fma_f16 v64, v64, 2.0, -v140
	;; [unrolled: 1-line block ×3, first 2 shown]
	v_add_f16_e32 v140, v160, v140
	v_sub_f16_e32 v153, v66, v153
	v_fma_f16 v165, v166, 2.0, -v160
	v_fma_f16 v62, v62, 2.0, -v56
	;; [unrolled: 1-line block ×3, first 2 shown]
	v_pack_b32_f16 v60, v60, v156
	v_fma_f16 v63, v63, 2.0, -v57
	v_fma_f16 v156, v159, 2.0, -v157
	;; [unrolled: 1-line block ×4, first 2 shown]
	v_pack_b32_f16 v140, v153, v140
	v_sub_f16_e32 v64, v138, v64
	v_sub_f16_e32 v153, v165, v164
	v_pack_b32_f16 v62, v62, v155
	v_pack_b32_f16 v56, v56, v162
	;; [unrolled: 1-line block ×5, first 2 shown]
	v_mul_f16_sdwa v181, v161, v38 dst_sel:DWORD dst_unused:UNUSED_PAD src0_sel:DWORD src1_sel:WORD_1
	v_mul_f16_sdwa v183, v65, v38 dst_sel:DWORD dst_unused:UNUSED_PAD src0_sel:DWORD src1_sel:WORD_1
	v_fma_f16 v138, v138, 2.0, -v64
	v_fma_f16 v141, v165, 2.0, -v153
	ds_write2_b32 v99, v62, v60 offset1:216
	ds_write2_b32 v133, v56, v58 offset0:16 offset1:232
	ds_write2_b32 v132, v63, v61 offset1:216
	ds_write2_b32 v137, v57, v59 offset0:16 offset1:232
	v_lshrrev_b32_e32 v56, 16, v145
	v_mul_f16_sdwa v57, v145, v35 dst_sel:DWORD dst_unused:UNUSED_PAD src0_sel:DWORD src1_sel:WORD_1
	v_lshrrev_b32_e32 v59, 16, v149
	v_lshrrev_b32_e32 v60, 16, v147
	v_fma_f16 v65, v65, v38, -v181
	v_fma_f16 v67, v67, v39, -v185
	v_fmac_f16_e32 v183, v161, v38
	v_pack_b32_f16 v138, v138, v141
	v_mul_f16_sdwa v61, v147, v36 dst_sel:DWORD dst_unused:UNUSED_PAD src0_sel:DWORD src1_sel:WORD_1
	v_fmac_f16_e32 v57, v56, v35
	v_mul_f16_sdwa v56, v56, v35 dst_sel:DWORD dst_unused:UNUSED_PAD src0_sel:DWORD src1_sel:WORD_1
	v_mul_f16_sdwa v62, v59, v37 dst_sel:DWORD dst_unused:UNUSED_PAD src0_sel:DWORD src1_sel:WORD_1
	;; [unrolled: 1-line block ×4, first 2 shown]
	v_sub_f16_e32 v67, v139, v67
	v_sub_f16_e32 v161, v167, v169
	;; [unrolled: 1-line block ×4, first 2 shown]
	v_fmac_f16_e32 v61, v60, v36
	v_fma_f16 v56, v145, v35, -v56
	v_fma_f16 v60, v149, v37, -v62
	v_fma_f16 v62, v147, v36, -v63
	v_lshrrev_b32_e32 v63, 16, v143
	v_fmac_f16_e32 v141, v59, v37
	v_fma_f16 v139, v139, 2.0, -v67
	v_fma_f16 v166, v167, 2.0, -v161
	;; [unrolled: 1-line block ×4, first 2 shown]
	v_sub_f16_e32 v154, v67, v154
	v_add_f16_e32 v52, v161, v52
	v_pack_b32_f16 v64, v64, v153
	v_sub_f16_e32 v59, v56, v60
	v_sub_f16_e32 v60, v143, v62
	;; [unrolled: 1-line block ×6, first 2 shown]
	v_fma_f16 v67, v67, 2.0, -v154
	v_fma_f16 v58, v161, 2.0, -v52
	ds_write2_b32 v135, v64, v140 offset0:24 offset1:240
	v_fma_f16 v56, v56, 2.0, -v59
	v_fma_f16 v64, v143, 2.0, -v60
	;; [unrolled: 1-line block ×4, first 2 shown]
	v_pack_b32_f16 v66, v66, v158
	v_fma_f16 v139, v139, 2.0, -v65
	v_fma_f16 v153, v166, 2.0, -v160
	v_pack_b32_f16 v58, v67, v58
	v_sub_f16_e32 v56, v64, v56
	v_sub_f16_e32 v57, v63, v57
	v_lshrrev_b32_e32 v67, 16, v146
	ds_write2_b32 v134, v138, v66 offset0:8 offset1:224
	v_pack_b32_f16 v66, v139, v153
	v_fma_f16 v64, v64, 2.0, -v56
	v_lshrrev_b32_e32 v138, 16, v148
	v_fma_f16 v63, v63, 2.0, -v57
	v_lshrrev_b32_e32 v139, 16, v150
	v_mul_f16_sdwa v140, v67, v32 dst_sel:DWORD dst_unused:UNUSED_PAD src0_sel:DWORD src1_sel:WORD_1
	v_mad_u16 v141, 0x360, v142, v151
	v_mul_f16_sdwa v142, v138, v33 dst_sel:DWORD dst_unused:UNUSED_PAD src0_sel:DWORD src1_sel:WORD_1
	v_pack_b32_f16 v63, v64, v63
	v_mul_f16_sdwa v64, v139, v34 dst_sel:DWORD dst_unused:UNUSED_PAD src0_sel:DWORD src1_sel:WORD_1
	v_fma_f16 v140, v146, v32, -v140
	v_mul_f16_sdwa v145, v146, v32 dst_sel:DWORD dst_unused:UNUSED_PAD src0_sel:DWORD src1_sel:WORD_1
	v_mul_f16_sdwa v146, v148, v33 dst_sel:DWORD dst_unused:UNUSED_PAD src0_sel:DWORD src1_sel:WORD_1
	v_sub_f16_e32 v62, v60, v62
	v_add_f16_e32 v59, v61, v59
	v_mul_f16_sdwa v147, v150, v34 dst_sel:DWORD dst_unused:UNUSED_PAD src0_sel:DWORD src1_sel:WORD_1
	v_fma_f16 v142, v148, v33, -v142
	v_fma_f16 v64, v150, v34, -v64
	v_fmac_f16_e32 v145, v67, v32
	v_fma_f16 v60, v60, 2.0, -v62
	v_fma_f16 v61, v61, 2.0, -v59
	v_fmac_f16_e32 v146, v138, v33
	v_fmac_f16_e32 v147, v139, v34
	v_lshrrev_b32_e32 v67, 16, v144
	v_add_nc_u32_e32 v143, 0x1b00, v55
	v_add_nc_u32_e32 v138, 0x2180, v55
	v_pack_b32_f16 v55, v60, v61
	v_sub_f16_e32 v60, v144, v142
	v_sub_f16_e32 v61, v67, v146
	;; [unrolled: 1-line block ×4, first 2 shown]
	v_lshlrev_b32_sdwa v139, v53, v141 dst_sel:DWORD dst_unused:UNUSED_PAD src0_sel:DWORD src1_sel:WORD_0
	v_fma_f16 v141, v144, 2.0, -v60
	v_fma_f16 v67, v67, 2.0, -v61
	;; [unrolled: 1-line block ×4, first 2 shown]
	v_pack_b32_f16 v65, v65, v160
	v_pack_b32_f16 v52, v154, v52
	ds_write2_b32 v143, v66, v58 offset1:216
	ds_write2_b32 v138, v65, v52 offset0:16 offset1:232
	ds_write2_b32 v139, v63, v55 offset1:216
	v_sub_f16_e32 v52, v141, v140
	v_sub_f16_e32 v55, v67, v144
	;; [unrolled: 1-line block ×3, first 2 shown]
	v_add_f16_e32 v63, v61, v64
	v_pack_b32_f16 v56, v56, v57
	v_fma_f16 v57, v141, 2.0, -v52
	v_fma_f16 v64, v67, 2.0, -v55
	;; [unrolled: 1-line block ×4, first 2 shown]
	v_lshlrev_b32_sdwa v53, v53, v152 dst_sel:DWORD dst_unused:UNUSED_PAD src0_sel:DWORD src1_sel:WORD_0
	v_pack_b32_f16 v59, v62, v59
	v_pack_b32_f16 v52, v52, v55
	;; [unrolled: 1-line block ×3, first 2 shown]
	v_mad_u64_u32 v[62:63], null, v54, 12, s[2:3]
	v_add_nc_u32_e32 v140, 0x680, v139
	v_pack_b32_f16 v57, v57, v64
	v_pack_b32_f16 v60, v60, v61
	v_add_nc_u32_e32 v141, 0x2800, v53
	v_add_nc_u32_e32 v142, 0x2f00, v53
	ds_write2_b32 v140, v56, v59 offset0:16 offset1:232
	v_add_co_u32 v56, vcc_lo, 0x800, v62
	ds_write2_b32 v141, v57, v60 offset0:32 offset1:248
	ds_write2_b32 v142, v52, v55 offset0:16 offset1:232
	v_add_co_ci_u32_e32 v57, vcc_lo, 0, v63, vcc_lo
	s_waitcnt lgkmcnt(0)
	s_barrier
	buffer_gl0_inv
	s_clause 0x1
	global_load_dwordx3 v[53:55], v[50:51], off offset:1384
	global_load_dwordx3 v[50:52], v[56:57], off offset:1384
	v_add_co_u32 v56, vcc_lo, 0x1000, v62
	v_add_co_ci_u32_e32 v57, vcc_lo, 0, v63, vcc_lo
	v_add_co_u32 v59, vcc_lo, 0x1800, v62
	v_add_co_ci_u32_e32 v60, vcc_lo, 0, v63, vcc_lo
	global_load_dwordx3 v[56:58], v[56:57], off offset:1064
	v_add_co_u32 v64, vcc_lo, 0x2000, v62
	global_load_dwordx3 v[59:61], v[59:60], off offset:744
	v_add_co_ci_u32_e32 v65, vcc_lo, 0, v63, vcc_lo
	v_add_co_u32 v66, vcc_lo, 0x2800, v62
	v_add_co_ci_u32_e32 v67, vcc_lo, 0, v63, vcc_lo
	s_clause 0x1
	global_load_dwordx3 v[62:64], v[64:65], off offset:424
	global_load_dwordx3 v[65:67], v[66:67], off offset:104
	ds_read2_b32 v[144:145], v88 offset0:96 offset1:240
	ds_read2_b32 v[146:147], v104 offset0:64 offset1:208
	;; [unrolled: 1-line block ×3, first 2 shown]
	ds_read2_b32 v[150:151], v105 offset1:144
	ds_read2_b32 v[152:153], v84 offset0:96 offset1:240
	ds_read2_b32 v[154:155], v102 offset0:64 offset1:208
	;; [unrolled: 1-line block ×3, first 2 shown]
	ds_read2_b32 v[158:159], v103 offset1:144
	s_mov_b32 s2, 0xbda12f68
	s_mov_b32 s3, 0x3f32f684
	s_waitcnt lgkmcnt(7)
	v_lshrrev_b32_e32 v160, 16, v144
	v_lshrrev_b32_e32 v161, 16, v145
	s_waitcnt lgkmcnt(6)
	v_lshrrev_b32_e32 v162, 16, v146
	s_waitcnt lgkmcnt(4)
	v_lshrrev_b32_e32 v166, 16, v150
	s_waitcnt lgkmcnt(3)
	v_lshrrev_b32_e32 v167, 16, v152
	s_waitcnt lgkmcnt(2)
	v_lshrrev_b32_e32 v171, 16, v155
	s_waitcnt lgkmcnt(1)
	v_lshrrev_b32_e32 v172, 16, v156
	v_lshrrev_b32_e32 v173, 16, v157
	;; [unrolled: 1-line block ×8, first 2 shown]
	s_waitcnt vmcnt(5)
	v_mul_f16_sdwa v174, v160, v53 dst_sel:DWORD dst_unused:UNUSED_PAD src0_sel:DWORD src1_sel:WORD_1
	s_waitcnt vmcnt(4)
	v_mul_f16_sdwa v175, v161, v50 dst_sel:DWORD dst_unused:UNUSED_PAD src0_sel:DWORD src1_sel:WORD_1
	v_mul_f16_sdwa v176, v144, v53 dst_sel:DWORD dst_unused:UNUSED_PAD src0_sel:DWORD src1_sel:WORD_1
	;; [unrolled: 1-line block ×4, first 2 shown]
	v_fma_f16 v174, v144, v53, -v174
	v_fma_f16 v175, v145, v50, -v175
	v_mul_f16_sdwa v178, v162, v54 dst_sel:DWORD dst_unused:UNUSED_PAD src0_sel:DWORD src1_sel:WORD_1
	v_fmac_f16_e32 v176, v160, v53
	v_fmac_f16_e32 v180, v162, v54
	s_waitcnt vmcnt(3)
	v_mul_f16_sdwa v144, v166, v56 dst_sel:DWORD dst_unused:UNUSED_PAD src0_sel:DWORD src1_sel:WORD_1
	v_mul_f16_sdwa v186, v150, v56 dst_sel:DWORD dst_unused:UNUSED_PAD src0_sel:DWORD src1_sel:WORD_1
	;; [unrolled: 1-line block ×5, first 2 shown]
	v_fma_f16 v150, v150, v56, -v144
	s_waitcnt vmcnt(2)
	v_mul_f16_sdwa v144, v171, v61 dst_sel:DWORD dst_unused:UNUSED_PAD src0_sel:DWORD src1_sel:WORD_1
	v_fma_f16 v152, v152, v57, -v145
	v_mul_f16_sdwa v184, v148, v55 dst_sel:DWORD dst_unused:UNUSED_PAD src0_sel:DWORD src1_sel:WORD_1
	v_fma_f16 v178, v146, v54, -v178
	;; [unrolled: 2-line block ×3, first 2 shown]
	s_waitcnt vmcnt(1)
	v_mul_f16_sdwa v144, v172, v62 dst_sel:DWORD dst_unused:UNUSED_PAD src0_sel:DWORD src1_sel:WORD_1
	s_waitcnt vmcnt(0)
	v_mul_f16_sdwa v145, v173, v65 dst_sel:DWORD dst_unused:UNUSED_PAD src0_sel:DWORD src1_sel:WORD_1
	v_mul_f16_sdwa v160, v156, v62 dst_sel:DWORD dst_unused:UNUSED_PAD src0_sel:DWORD src1_sel:WORD_1
	v_mul_f16_sdwa v162, v157, v65 dst_sel:DWORD dst_unused:UNUSED_PAD src0_sel:DWORD src1_sel:WORD_1
	v_mul_f16_sdwa v179, v163, v51 dst_sel:DWORD dst_unused:UNUSED_PAD src0_sel:DWORD src1_sel:WORD_1
	v_fma_f16 v156, v156, v62, -v144
	v_fma_f16 v157, v157, v65, -v145
	ds_read2_b32 v[144:145], v81 offset0:96 offset1:240
	v_mul_f16_sdwa v181, v147, v51 dst_sel:DWORD dst_unused:UNUSED_PAD src0_sel:DWORD src1_sel:WORD_1
	v_mul_f16_sdwa v182, v164, v55 dst_sel:DWORD dst_unused:UNUSED_PAD src0_sel:DWORD src1_sel:WORD_1
	;; [unrolled: 1-line block ×3, first 2 shown]
	v_fma_f16 v149, v149, v52, -v183
	v_fma_f16 v183, v151, v59, -v146
	v_mul_f16_sdwa v151, v151, v59 dst_sel:DWORD dst_unused:UNUSED_PAD src0_sel:DWORD src1_sel:WORD_1
	v_mul_f16_sdwa v188, v154, v58 dst_sel:DWORD dst_unused:UNUSED_PAD src0_sel:DWORD src1_sel:WORD_1
	v_fmac_f16_e32 v184, v164, v55
	v_fmac_f16_e32 v177, v161, v50
	s_waitcnt lgkmcnt(1)
	v_lshrrev_b32_e32 v161, 16, v158
	v_fmac_f16_e32 v186, v166, v56
	v_fmac_f16_e32 v187, v167, v57
	v_mul_f16_sdwa v164, v158, v63 dst_sel:DWORD dst_unused:UNUSED_PAD src0_sel:DWORD src1_sel:WORD_1
	v_fma_f16 v179, v147, v51, -v179
	v_mul_f16_sdwa v147, v168, v58 dst_sel:DWORD dst_unused:UNUSED_PAD src0_sel:DWORD src1_sel:WORD_1
	v_fmac_f16_e32 v181, v163, v51
	v_lshrrev_b32_e32 v163, 16, v159
	v_mul_f16_sdwa v146, v161, v63 dst_sel:DWORD dst_unused:UNUSED_PAD src0_sel:DWORD src1_sel:WORD_1
	v_fmac_f16_e32 v188, v168, v58
	s_waitcnt lgkmcnt(0)
	v_lshrrev_b32_e32 v166, 16, v144
	v_lshrrev_b32_e32 v167, 16, v145
	v_fmac_f16_e32 v151, v169, v59
	v_mul_f16_sdwa v168, v144, v64 dst_sel:DWORD dst_unused:UNUSED_PAD src0_sel:DWORD src1_sel:WORD_1
	v_fmac_f16_e32 v164, v161, v63
	v_mul_f16_sdwa v169, v166, v64 dst_sel:DWORD dst_unused:UNUSED_PAD src0_sel:DWORD src1_sel:WORD_1
	v_mul_f16_sdwa v161, v167, v67 dst_sel:DWORD dst_unused:UNUSED_PAD src0_sel:DWORD src1_sel:WORD_1
	v_fma_f16 v154, v154, v58, -v147
	v_mul_f16_sdwa v147, v163, v66 dst_sel:DWORD dst_unused:UNUSED_PAD src0_sel:DWORD src1_sel:WORD_1
	v_fmac_f16_e32 v168, v166, v64
	v_mul_f16_sdwa v166, v145, v67 dst_sel:DWORD dst_unused:UNUSED_PAD src0_sel:DWORD src1_sel:WORD_1
	v_fma_f16 v169, v144, v64, -v169
	v_fma_f16 v161, v145, v67, -v161
	ds_read2_b32 v[144:145], v91 offset0:32 offset1:176
	v_fmac_f16_e32 v185, v165, v52
	v_mul_f16_sdwa v165, v159, v66 dst_sel:DWORD dst_unused:UNUSED_PAD src0_sel:DWORD src1_sel:WORD_1
	v_fma_f16 v158, v158, v63, -v146
	v_fma_f16 v159, v159, v66, -v147
	ds_read2_b32 v[146:147], v99 offset1:144
	v_fma_f16 v148, v148, v55, -v182
	v_mul_f16_sdwa v182, v170, v60 dst_sel:DWORD dst_unused:UNUSED_PAD src0_sel:DWORD src1_sel:WORD_1
	v_mul_f16_sdwa v155, v155, v61 dst_sel:DWORD dst_unused:UNUSED_PAD src0_sel:DWORD src1_sel:WORD_1
	v_fmac_f16_e32 v166, v167, v67
	v_fmac_f16_e32 v160, v172, v62
	;; [unrolled: 1-line block ×3, first 2 shown]
	v_fma_f16 v182, v153, v60, -v182
	v_fmac_f16_e32 v155, v171, v61
	v_mul_f16_sdwa v153, v153, v60 dst_sel:DWORD dst_unused:UNUSED_PAD src0_sel:DWORD src1_sel:WORD_1
	v_fmac_f16_e32 v165, v163, v66
	v_sub_f16_e32 v154, v150, v154
	v_sub_f16_e32 v161, v157, v161
	v_sub_f16_e32 v155, v151, v155
	v_fmac_f16_e32 v153, v170, v60
	s_waitcnt lgkmcnt(1)
	v_sub_f16_e32 v152, v144, v152
	v_sub_f16_e32 v167, v145, v182
	v_lshrrev_b32_e32 v173, 16, v144
	v_fma_f16 v150, v150, 2.0, -v154
	v_fma_f16 v151, v151, 2.0, -v155
	s_waitcnt lgkmcnt(0)
	v_sub_f16_e32 v171, v146, v178
	v_sub_f16_e32 v172, v147, v179
	v_lshrrev_b32_e32 v178, 16, v145
	v_fma_f16 v179, v144, 2.0, -v152
	v_fma_f16 v182, v145, 2.0, -v167
	ds_read2_b32 v[144:145], v106 offset0:64 offset1:208
	v_lshrrev_b32_e32 v170, 16, v146
	v_lshrrev_b32_e32 v163, 16, v147
	v_fma_f16 v146, v146, 2.0, -v171
	v_fma_f16 v147, v147, 2.0, -v172
	v_sub_f16_e32 v153, v178, v153
	v_sub_f16_e32 v180, v170, v180
	;; [unrolled: 1-line block ×5, first 2 shown]
	v_fma_f16 v178, v178, 2.0, -v153
	v_fma_f16 v170, v170, 2.0, -v180
	;; [unrolled: 1-line block ×4, first 2 shown]
	v_sub_f16_e32 v168, v160, v168
	v_sub_f16_e32 v169, v156, v169
	;; [unrolled: 1-line block ×4, first 2 shown]
	v_fma_f16 v157, v157, 2.0, -v161
	v_fma_f16 v162, v162, 2.0, -v166
	s_waitcnt lgkmcnt(0)
	v_sub_f16_e32 v158, v144, v158
	v_lshrrev_b32_e32 v190, 16, v144
	v_lshrrev_b32_e32 v191, 16, v145
	v_sub_f16_e32 v159, v145, v159
	v_fma_f16 v160, v160, 2.0, -v168
	v_fma_f16 v192, v144, 2.0, -v158
	v_sub_f16_e32 v144, v174, v148
	v_sub_f16_e32 v148, v176, v184
	;; [unrolled: 1-line block ×5, first 2 shown]
	v_fma_f16 v174, v174, 2.0, -v144
	v_fma_f16 v176, v176, 2.0, -v148
	v_sub_f16_e32 v148, v171, v148
	v_add_f16_e32 v144, v180, v144
	v_add_f16_e32 v154, v184, v154
	v_fma_f16 v173, v173, 2.0, -v184
	v_fma_f16 v145, v145, 2.0, -v159
	;; [unrolled: 1-line block ×4, first 2 shown]
	v_pack_b32_f16 v148, v148, v144
	v_sub_f16_e32 v144, v175, v149
	v_sub_f16_e32 v149, v177, v185
	v_fma_f16 v184, v184, 2.0, -v154
	v_pack_b32_f16 v171, v171, v180
	v_fma_f16 v180, v191, 2.0, -v165
	v_fma_f16 v175, v175, 2.0, -v144
	;; [unrolled: 1-line block ×3, first 2 shown]
	v_sub_f16_e32 v149, v172, v149
	v_add_f16_e32 v144, v181, v144
	v_fma_f16 v156, v156, 2.0, -v169
	v_sub_f16_e32 v175, v147, v175
	v_sub_f16_e32 v177, v163, v177
	v_fma_f16 v172, v172, 2.0, -v149
	v_fma_f16 v181, v181, 2.0, -v144
	v_pack_b32_f16 v149, v149, v144
	v_sub_f16_e32 v144, v186, v188
	v_fma_f16 v147, v147, 2.0, -v175
	v_fma_f16 v163, v163, 2.0, -v177
	ds_write_b32 v99, v148 offset:10368
	v_pack_b32_f16 v148, v172, v181
	v_fma_f16 v185, v186, 2.0, -v144
	v_sub_f16_e32 v144, v152, v144
	v_pack_b32_f16 v172, v175, v177
	v_fma_f16 v175, v179, 2.0, -v150
	v_fma_f16 v178, v178, 2.0, -v151
	v_sub_f16_e32 v185, v173, v185
	v_fma_f16 v152, v152, 2.0, -v144
	v_pack_b32_f16 v154, v144, v154
	v_sub_f16_e32 v144, v183, v189
	v_sub_f16_e32 v157, v145, v157
	v_fma_f16 v173, v173, 2.0, -v185
	v_sub_f16_e32 v162, v180, v162
	v_pack_b32_f16 v147, v147, v163
	v_fma_f16 v183, v183, 2.0, -v144
	v_add_f16_e32 v144, v153, v144
	v_sub_f16_e32 v168, v158, v168
	v_add_f16_e32 v169, v164, v169
	v_sub_f16_e32 v156, v192, v156
	v_sub_f16_e32 v183, v182, v183
	v_pack_b32_f16 v155, v155, v144
	v_fma_f16 v153, v153, 2.0, -v144
	v_sub_f16_e32 v144, v146, v174
	v_sub_f16_e32 v174, v170, v176
	v_fma_f16 v176, v190, 2.0, -v164
	v_fma_f16 v177, v182, 2.0, -v183
	v_pack_b32_f16 v152, v152, v184
	v_fma_f16 v146, v146, 2.0, -v144
	v_fma_f16 v170, v170, 2.0, -v174
	v_pack_b32_f16 v174, v144, v174
	v_sub_f16_e32 v160, v176, v160
	v_add_nc_u32_e32 v144, 0xf00, v99
	v_pack_b32_f16 v163, v175, v173
	v_pack_b32_f16 v146, v146, v170
	;; [unrolled: 1-line block ×5, first 2 shown]
	v_fma_f16 v145, v145, 2.0, -v157
	ds_write_b32 v99, v171 offset:3456
	ds_write_b32 v99, v174 offset:6912
	ds_write2_b32 v99, v146, v147 offset1:144
	ds_write_b32 v99, v172 offset:7488
	ds_write_b32 v99, v149 offset:10944
	ds_write2_b32 v144, v148, v152 offset0:48 offset1:192
	ds_write2_b32 v91, v163, v170 offset0:32 offset1:176
	;; [unrolled: 1-line block ×4, first 2 shown]
	v_fma_f16 v146, v180, 2.0, -v162
	v_sub_f16_e32 v147, v159, v166
	v_add_f16_e32 v148, v165, v161
	v_fma_f16 v158, v158, 2.0, -v168
	v_fma_f16 v164, v164, 2.0, -v169
	v_pack_b32_f16 v153, v167, v153
	v_fma_f16 v167, v192, 2.0, -v156
	v_fma_f16 v176, v176, 2.0, -v160
	v_pack_b32_f16 v145, v145, v146
	v_fma_f16 v146, v159, 2.0, -v147
	v_fma_f16 v151, v165, 2.0, -v148
	v_pack_b32_f16 v149, v158, v164
	v_pack_b32_f16 v150, v167, v176
	v_pack_b32_f16 v152, v156, v160
	;; [unrolled: 1-line block ×6, first 2 shown]
	ds_write2_b32 v107, v153, v149 offset0:16 offset1:160
	ds_write2_b32 v106, v150, v145 offset0:64 offset1:208
	ds_write2_b32 v103, v152, v154 offset1:144
	ds_write2_b32 v81, v155, v147 offset0:96 offset1:240
	ds_write_b32 v99, v146 offset:6336
	s_waitcnt lgkmcnt(0)
	s_barrier
	buffer_gl0_inv
	s_clause 0x1
	global_load_dword v153, v99, s[6:7]
	global_load_dword v154, v99, s[6:7] offset:576
	v_add_co_u32 v155, s0, s6, v99
	v_add_co_ci_u32_e64 v156, null, s7, 0, s0
	v_add_co_u32 v145, vcc_lo, 0x800, v155
	v_add_co_ci_u32_e32 v146, vcc_lo, 0, v156, vcc_lo
	s_clause 0x3
	global_load_dword v157, v[145:146], off offset:832
	global_load_dword v158, v99, s[6:7] offset:1152
	global_load_dword v159, v[145:146], off offset:1408
	global_load_dword v160, v[145:146], off offset:256
	v_add_co_u32 v147, vcc_lo, 0x1800, v155
	v_add_co_ci_u32_e32 v148, vcc_lo, 0, v156, vcc_lo
	s_clause 0x1
	global_load_dword v161, v[147:148], off offset:1344
	global_load_dword v162, v99, s[6:7] offset:1728
	v_add_co_u32 v149, vcc_lo, 0x2000, v155
	v_add_co_ci_u32_e32 v150, vcc_lo, 0, v156, vcc_lo
	s_clause 0x3
	global_load_dword v163, v[147:148], off offset:1920
	global_load_dword v164, v[147:148], off offset:768
	;; [unrolled: 1-line block ×3, first 2 shown]
	global_load_dword v108, v108, s[6:7]
	v_add_co_u32 v151, vcc_lo, 0x3000, v155
	v_add_co_ci_u32_e32 v152, vcc_lo, 0, v156, vcc_lo
	s_clause 0x2
	global_load_dword v166, v[151:152], off offset:384
	global_load_dword v167, v[151:152], off offset:960
	;; [unrolled: 1-line block ×3, first 2 shown]
	v_add_co_u32 v149, vcc_lo, 0x2800, v155
	v_add_co_ci_u32_e32 v150, vcc_lo, 0, v156, vcc_lo
	s_clause 0x3
	global_load_dword v169, v[149:150], off offset:1856
	global_load_dword v170, v[149:150], off offset:1280
	;; [unrolled: 1-line block ×4, first 2 shown]
	v_add_co_u32 v149, vcc_lo, 0x1000, v155
	v_add_co_ci_u32_e32 v150, vcc_lo, 0, v156, vcc_lo
	s_clause 0x4
	global_load_dword v173, v[149:150], off offset:512
	global_load_dword v174, v[149:150], off offset:1088
	;; [unrolled: 1-line block ×5, first 2 shown]
	ds_read2_b32 v[145:146], v99 offset1:144
	s_mul_i32 s6, s9, 0xffffd540
	s_waitcnt lgkmcnt(0)
	v_lshrrev_b32_e32 v147, 16, v145
	s_waitcnt vmcnt(23)
	v_mul_f16_sdwa v148, v145, v153 dst_sel:DWORD dst_unused:UNUSED_PAD src0_sel:DWORD src1_sel:WORD_1
	v_mul_f16_sdwa v149, v147, v153 dst_sel:DWORD dst_unused:UNUSED_PAD src0_sel:DWORD src1_sel:WORD_1
	s_waitcnt vmcnt(22)
	v_mul_f16_sdwa v178, v146, v154 dst_sel:DWORD dst_unused:UNUSED_PAD src0_sel:DWORD src1_sel:WORD_1
	v_fmac_f16_e32 v148, v147, v153
	v_fma_f16 v145, v145, v153, -v149
	v_pack_b32_f16 v145, v145, v148
	ds_write_b32 v99, v145
	ds_read2_b32 v[147:148], v106 offset0:64 offset1:208
	ds_read2_b32 v[149:150], v91 offset0:32 offset1:176
	v_lshrrev_b32_e32 v145, 16, v146
	ds_read2_b32 v[151:152], v104 offset0:64 offset1:208
	v_mul_f16_sdwa v153, v145, v154 dst_sel:DWORD dst_unused:UNUSED_PAD src0_sel:DWORD src1_sel:WORD_1
	v_fmac_f16_e32 v178, v145, v154
	v_fma_f16 v179, v146, v154, -v153
	ds_read2_b32 v[145:146], v84 offset0:96 offset1:240
	ds_read2_b32 v[153:154], v103 offset1:144
	ds_read2_b32 v[155:156], v102 offset0:64 offset1:208
	s_waitcnt lgkmcnt(5)
	v_lshrrev_b32_e32 v180, 16, v148
	v_lshrrev_b32_e32 v181, 16, v147
	s_waitcnt vmcnt(21)
	v_mul_f16_sdwa v182, v148, v157 dst_sel:DWORD dst_unused:UNUSED_PAD src0_sel:DWORD src1_sel:WORD_1
	s_waitcnt lgkmcnt(4)
	v_lshrrev_b32_e32 v183, 16, v149
	s_waitcnt vmcnt(20)
	v_mul_f16_sdwa v185, v149, v158 dst_sel:DWORD dst_unused:UNUSED_PAD src0_sel:DWORD src1_sel:WORD_1
	v_mul_f16_sdwa v184, v180, v157 dst_sel:DWORD dst_unused:UNUSED_PAD src0_sel:DWORD src1_sel:WORD_1
	s_waitcnt vmcnt(18)
	v_mul_f16_sdwa v186, v181, v160 dst_sel:DWORD dst_unused:UNUSED_PAD src0_sel:DWORD src1_sel:WORD_1
	v_fmac_f16_e32 v182, v180, v157
	v_mul_f16_sdwa v180, v147, v160 dst_sel:DWORD dst_unused:UNUSED_PAD src0_sel:DWORD src1_sel:WORD_1
	v_fmac_f16_e32 v185, v183, v158
	v_fma_f16 v157, v148, v157, -v184
	v_lshrrev_b32_e32 v148, 16, v150
	v_fma_f16 v184, v147, v160, -v186
	v_mul_f16_sdwa v186, v183, v158 dst_sel:DWORD dst_unused:UNUSED_PAD src0_sel:DWORD src1_sel:WORD_1
	v_fmac_f16_e32 v180, v181, v160
	s_waitcnt lgkmcnt(3)
	v_lshrrev_b32_e32 v147, 16, v152
	s_waitcnt vmcnt(16)
	v_mul_f16_sdwa v181, v148, v162 dst_sel:DWORD dst_unused:UNUSED_PAD src0_sel:DWORD src1_sel:WORD_1
	v_mul_f16_sdwa v160, v152, v161 dst_sel:DWORD dst_unused:UNUSED_PAD src0_sel:DWORD src1_sel:WORD_1
	;; [unrolled: 1-line block ×3, first 2 shown]
	v_fma_f16 v149, v149, v158, -v186
	s_waitcnt vmcnt(14)
	v_mul_f16_sdwa v186, v151, v164 dst_sel:DWORD dst_unused:UNUSED_PAD src0_sel:DWORD src1_sel:WORD_1
	v_fma_f16 v150, v150, v162, -v181
	v_lshrrev_b32_e32 v181, 16, v151
	s_waitcnt lgkmcnt(1)
	v_lshrrev_b32_e32 v158, 16, v154
	v_fmac_f16_e32 v183, v148, v162
	v_mul_f16_sdwa v148, v147, v161 dst_sel:DWORD dst_unused:UNUSED_PAD src0_sel:DWORD src1_sel:WORD_1
	v_fmac_f16_e32 v160, v147, v161
	v_mul_f16_sdwa v147, v181, v164 dst_sel:DWORD dst_unused:UNUSED_PAD src0_sel:DWORD src1_sel:WORD_1
	v_fmac_f16_e32 v186, v181, v164
	v_lshrrev_b32_e32 v181, 16, v153
	s_waitcnt vmcnt(13)
	v_mul_f16_sdwa v162, v154, v165 dst_sel:DWORD dst_unused:UNUSED_PAD src0_sel:DWORD src1_sel:WORD_1
	v_fma_f16 v152, v152, v161, -v148
	v_mul_f16_sdwa v161, v158, v165 dst_sel:DWORD dst_unused:UNUSED_PAD src0_sel:DWORD src1_sel:WORD_1
	v_fma_f16 v151, v151, v164, -v147
	s_waitcnt vmcnt(12)
	v_mul_f16_sdwa v164, v181, v108 dst_sel:DWORD dst_unused:UNUSED_PAD src0_sel:DWORD src1_sel:WORD_1
	ds_read2_b32 v[147:148], v82 offset0:32 offset1:176
	v_fmac_f16_e32 v162, v158, v165
	v_mul_f16_sdwa v158, v153, v108 dst_sel:DWORD dst_unused:UNUSED_PAD src0_sel:DWORD src1_sel:WORD_1
	v_fma_f16 v154, v154, v165, -v161
	v_lshrrev_b32_e32 v161, 16, v145
	v_fma_f16 v153, v153, v108, -v164
	v_lshrrev_b32_e32 v164, 16, v146
	v_mul_f16_sdwa v165, v145, v163 dst_sel:DWORD dst_unused:UNUSED_PAD src0_sel:DWORD src1_sel:WORD_1
	v_fmac_f16_e32 v158, v181, v108
	v_mul_f16_sdwa v108, v161, v163 dst_sel:DWORD dst_unused:UNUSED_PAD src0_sel:DWORD src1_sel:WORD_1
	v_pack_b32_f16 v149, v149, v185
	s_waitcnt vmcnt(9)
	v_mul_f16_sdwa v181, v164, v168 dst_sel:DWORD dst_unused:UNUSED_PAD src0_sel:DWORD src1_sel:WORD_1
	v_fmac_f16_e32 v165, v161, v163
	v_mul_f16_sdwa v161, v146, v168 dst_sel:DWORD dst_unused:UNUSED_PAD src0_sel:DWORD src1_sel:WORD_1
	v_fma_f16 v108, v145, v163, -v108
	s_waitcnt lgkmcnt(1)
	v_lshrrev_b32_e32 v145, 16, v156
	v_fma_f16 v163, v146, v168, -v181
	s_waitcnt vmcnt(8)
	v_mul_f16_sdwa v181, v156, v169 dst_sel:DWORD dst_unused:UNUSED_PAD src0_sel:DWORD src1_sel:WORD_1
	v_lshrrev_b32_e32 v146, 16, v155
	v_fmac_f16_e32 v161, v164, v168
	s_waitcnt vmcnt(7)
	v_mul_f16_sdwa v164, v155, v170 dst_sel:DWORD dst_unused:UNUSED_PAD src0_sel:DWORD src1_sel:WORD_1
	v_mul_f16_sdwa v168, v145, v169 dst_sel:DWORD dst_unused:UNUSED_PAD src0_sel:DWORD src1_sel:WORD_1
	v_fmac_f16_e32 v181, v145, v169
	v_mul_f16_sdwa v145, v146, v170 dst_sel:DWORD dst_unused:UNUSED_PAD src0_sel:DWORD src1_sel:WORD_1
	s_waitcnt lgkmcnt(0)
	v_lshrrev_b32_e32 v187, 16, v147
	v_fmac_f16_e32 v164, v146, v170
	v_fma_f16 v156, v156, v169, -v168
	s_waitcnt vmcnt(6)
	v_mul_f16_sdwa v168, v147, v171 dst_sel:DWORD dst_unused:UNUSED_PAD src0_sel:DWORD src1_sel:WORD_1
	v_fma_f16 v155, v155, v170, -v145
	ds_read2_b32 v[145:146], v105 offset1:144
	v_mul_f16_sdwa v169, v187, v171 dst_sel:DWORD dst_unused:UNUSED_PAD src0_sel:DWORD src1_sel:WORD_1
	v_lshrrev_b32_e32 v170, 16, v148
	v_fmac_f16_e32 v168, v187, v171
	v_pack_b32_f16 v157, v157, v182
	v_pack_b32_f16 v152, v152, v160
	v_fma_f16 v147, v147, v171, -v169
	s_waitcnt vmcnt(5)
	v_mul_f16_sdwa v169, v170, v172 dst_sel:DWORD dst_unused:UNUSED_PAD src0_sel:DWORD src1_sel:WORD_1
	v_pack_b32_f16 v108, v108, v165
	v_pack_b32_f16 v154, v154, v162
	v_add_nc_u32_e32 v160, 0x600, v99
	v_pack_b32_f16 v147, v147, v168
	v_fma_f16 v169, v148, v172, -v169
	v_mul_f16_sdwa v148, v148, v172 dst_sel:DWORD dst_unused:UNUSED_PAD src0_sel:DWORD src1_sel:WORD_1
	v_add_nc_u32_e32 v162, 0x2100, v99
	v_pack_b32_f16 v156, v156, v181
	v_pack_b32_f16 v150, v150, v183
	;; [unrolled: 1-line block ×3, first 2 shown]
	v_fmac_f16_e32 v148, v170, v172
	v_pack_b32_f16 v153, v153, v158
	s_waitcnt lgkmcnt(0)
	v_lshrrev_b32_e32 v171, 16, v145
	s_waitcnt vmcnt(4)
	v_mul_f16_sdwa v170, v145, v173 dst_sel:DWORD dst_unused:UNUSED_PAD src0_sel:DWORD src1_sel:WORD_1
	v_pack_b32_f16 v158, v163, v161
	v_pack_b32_f16 v155, v155, v164
	;; [unrolled: 1-line block ×3, first 2 shown]
	v_mul_f16_sdwa v172, v171, v173 dst_sel:DWORD dst_unused:UNUSED_PAD src0_sel:DWORD src1_sel:WORD_1
	v_fmac_f16_e32 v170, v171, v173
	v_lshrrev_b32_e32 v171, 16, v146
	v_add_nc_u32_e32 v165, 0x1800, v99
	v_add_nc_u32_e32 v168, 0x2a00, v99
	v_fma_f16 v172, v145, v173, -v172
	s_waitcnt vmcnt(3)
	v_mul_f16_sdwa v173, v146, v174 dst_sel:DWORD dst_unused:UNUSED_PAD src0_sel:DWORD src1_sel:WORD_1
	v_mul_f16_sdwa v145, v171, v174 dst_sel:DWORD dst_unused:UNUSED_PAD src0_sel:DWORD src1_sel:WORD_1
	v_pack_b32_f16 v164, v172, v170
	v_fmac_f16_e32 v173, v171, v174
	v_fma_f16 v171, v146, v174, -v145
	ds_read2_b32 v[145:146], v86 offset0:32 offset1:176
	v_pack_b32_f16 v161, v171, v173
	s_waitcnt lgkmcnt(0)
	v_lshrrev_b32_e32 v174, 16, v146
	s_waitcnt vmcnt(2)
	v_mul_f16_sdwa v187, v146, v175 dst_sel:DWORD dst_unused:UNUSED_PAD src0_sel:DWORD src1_sel:WORD_1
	s_waitcnt vmcnt(1)
	v_mul_f16_sdwa v188, v145, v176 dst_sel:DWORD dst_unused:UNUSED_PAD src0_sel:DWORD src1_sel:WORD_1
	v_fmac_f16_e32 v187, v174, v175
	v_mul_f16_sdwa v174, v174, v175 dst_sel:DWORD dst_unused:UNUSED_PAD src0_sel:DWORD src1_sel:WORD_1
	v_fma_f16 v174, v146, v175, -v174
	v_lshrrev_b32_e32 v146, 16, v145
	v_pack_b32_f16 v174, v174, v187
	v_mul_f16_sdwa v175, v146, v176 dst_sel:DWORD dst_unused:UNUSED_PAD src0_sel:DWORD src1_sel:WORD_1
	v_fmac_f16_e32 v188, v146, v176
	v_fma_f16 v175, v145, v176, -v175
	ds_read2_b32 v[145:146], v88 offset0:96 offset1:240
	v_pack_b32_f16 v163, v175, v188
	s_waitcnt lgkmcnt(0)
	v_lshrrev_b32_e32 v176, 16, v145
	v_mul_f16_sdwa v189, v145, v159 dst_sel:DWORD dst_unused:UNUSED_PAD src0_sel:DWORD src1_sel:WORD_1
	s_waitcnt vmcnt(0)
	v_mul_f16_sdwa v190, v146, v177 dst_sel:DWORD dst_unused:UNUSED_PAD src0_sel:DWORD src1_sel:WORD_1
	v_fmac_f16_e32 v189, v176, v159
	v_mul_f16_sdwa v176, v176, v159 dst_sel:DWORD dst_unused:UNUSED_PAD src0_sel:DWORD src1_sel:WORD_1
	v_fma_f16 v159, v145, v159, -v176
	v_lshrrev_b32_e32 v145, 16, v146
	v_pack_b32_f16 v159, v159, v189
	v_mul_f16_sdwa v176, v145, v177 dst_sel:DWORD dst_unused:UNUSED_PAD src0_sel:DWORD src1_sel:WORD_1
	v_fmac_f16_e32 v190, v145, v177
	v_fma_f16 v176, v146, v177, -v176
	ds_read2_b32 v[145:146], v81 offset0:96 offset1:240
	v_pack_b32_f16 v169, v176, v190
	s_waitcnt lgkmcnt(0)
	v_lshrrev_b32_e32 v177, 16, v145
	v_mul_f16_sdwa v191, v145, v166 dst_sel:DWORD dst_unused:UNUSED_PAD src0_sel:DWORD src1_sel:WORD_1
	v_fmac_f16_e32 v191, v177, v166
	v_mul_f16_sdwa v177, v177, v166 dst_sel:DWORD dst_unused:UNUSED_PAD src0_sel:DWORD src1_sel:WORD_1
	v_fma_f16 v145, v145, v166, -v177
	v_lshrrev_b32_e32 v166, 16, v146
	v_pack_b32_f16 v145, v145, v191
	v_mul_f16_sdwa v177, v166, v167 dst_sel:DWORD dst_unused:UNUSED_PAD src0_sel:DWORD src1_sel:WORD_1
	v_fma_f16 v177, v146, v167, -v177
	v_mul_f16_sdwa v146, v146, v167 dst_sel:DWORD dst_unused:UNUSED_PAD src0_sel:DWORD src1_sel:WORD_1
	v_fmac_f16_e32 v146, v166, v167
	v_pack_b32_f16 v166, v179, v178
	v_add_nc_u32_e32 v167, 0x200, v99
	v_pack_b32_f16 v178, v184, v180
	v_pack_b32_f16 v146, v177, v146
	ds_write2_b32 v167, v166, v149 offset0:16 offset1:160
	ds_write2_b32 v117, v157, v159 offset0:80 offset1:224
	;; [unrolled: 1-line block ×11, first 2 shown]
	ds_write_b32 v99, v146 offset:13248
	s_waitcnt lgkmcnt(0)
	s_barrier
	buffer_gl0_inv
	ds_read2_b32 v[117:118], v104 offset0:64 offset1:208
	ds_read2_b32 v[119:120], v102 offset0:64 offset1:208
	ds_read2_b32 v[145:146], v105 offset1:144
	ds_read2_b32 v[147:148], v103 offset1:144
	;; [unrolled: 1-line block ×3, first 2 shown]
	ds_read2_b32 v[151:152], v106 offset0:64 offset1:208
	ds_read2_b32 v[153:154], v84 offset0:96 offset1:240
	;; [unrolled: 1-line block ×7, first 2 shown]
	s_waitcnt lgkmcnt(0)
	s_barrier
	buffer_gl0_inv
	v_pk_add_f16 v108, v117, v119
	v_pk_add_f16 v165, v117, v119 neg_lo:[0,1] neg_hi:[0,1]
	v_pk_add_f16 v166, v145, v147
	v_pk_add_f16 v167, v145, v147 neg_lo:[0,1] neg_hi:[0,1]
	v_pk_add_f16 v145, v149, v145
	v_pk_add_f16 v117, v151, v117
	v_pk_add_f16 v168, v150, v146
	v_pk_add_f16 v169, v146, v148
	v_pk_add_f16 v170, v118, v120
	v_pk_add_f16 v171, v152, v118
	v_pk_add_f16 v172, v118, v120 neg_lo:[0,1] neg_hi:[0,1]
	v_pk_add_f16 v118, v153, v155
	v_pk_add_f16 v173, v153, v155 neg_lo:[0,1] neg_hi:[0,1]
	v_pk_add_f16 v174, v157, v159
	;; [unrolled: 2-line block ×3, first 2 shown]
	v_pk_add_f16 v153, v163, v153
	v_pk_add_f16 v176, v162, v158
	;; [unrolled: 1-line block ×5, first 2 shown]
	v_pk_fma_f16 v108, v108, 0.5, v151 op_sel_hi:[1,0,1] neg_lo:[1,0,0] neg_hi:[1,0,0]
	v_pk_add_f16 v146, v146, v148 neg_lo:[0,1] neg_hi:[0,1]
	v_pk_add_f16 v158, v158, v160 neg_lo:[0,1] neg_hi:[0,1]
	;; [unrolled: 1-line block ×3, first 2 shown]
	v_pk_add_f16 v145, v145, v147
	v_pk_add_f16 v117, v117, v119
	;; [unrolled: 1-line block ×3, first 2 shown]
	v_pk_fma_f16 v148, v169, 0.5, v150 op_sel_hi:[1,0,1] neg_lo:[1,0,0] neg_hi:[1,0,0]
	v_pk_fma_f16 v150, v170, 0.5, v152 op_sel_hi:[1,0,1] neg_lo:[1,0,0] neg_hi:[1,0,0]
	v_pk_add_f16 v120, v171, v120
	v_pk_fma_f16 v151, v118, 0.5, v163 op_sel_hi:[1,0,1] neg_lo:[1,0,0] neg_hi:[1,0,0]
	v_pk_fma_f16 v152, v174, 0.5, v161 op_sel_hi:[1,0,1] neg_lo:[1,0,0] neg_hi:[1,0,0]
	v_pk_add_f16 v157, v157, v159
	v_pk_add_f16 v153, v153, v155
	;; [unrolled: 1-line block ×3, first 2 shown]
	v_pk_fma_f16 v159, v177, 0.5, v162 op_sel_hi:[1,0,1] neg_lo:[1,0,0] neg_hi:[1,0,0]
	v_pk_fma_f16 v160, v178, 0.5, v164 op_sel_hi:[1,0,1] neg_lo:[1,0,0] neg_hi:[1,0,0]
	v_pk_add_f16 v156, v179, v156
	v_pk_fma_f16 v161, 0x3aee, v165, v108 op_sel:[0,0,1] op_sel_hi:[0,1,0]
	v_pk_fma_f16 v108, 0x3aee, v165, v108 op_sel:[0,0,1] op_sel_hi:[0,1,0] neg_lo:[0,1,0] neg_hi:[0,1,0]
	v_pk_fma_f16 v149, v166, 0.5, v149 op_sel_hi:[1,0,1] neg_lo:[1,0,0] neg_hi:[1,0,0]
	v_pk_add_f16 v118, v145, v117 neg_lo:[0,1] neg_hi:[0,1]
	v_pk_add_f16 v119, v145, v117
	v_pk_fma_f16 v117, 0x3aee, v172, v150 op_sel:[0,0,1] op_sel_hi:[0,1,0] neg_lo:[0,1,0] neg_hi:[0,1,0]
	v_pk_fma_f16 v145, 0x3aee, v172, v150 op_sel:[0,0,1] op_sel_hi:[0,1,0]
	v_pk_fma_f16 v163, 0x3aee, v146, v148 op_sel:[0,0,1] op_sel_hi:[0,1,0] neg_lo:[0,1,0] neg_hi:[0,1,0]
	v_pk_fma_f16 v164, 0x3aee, v146, v148 op_sel:[0,0,1] op_sel_hi:[0,1,0]
	v_pk_add_f16 v146, v147, v120 neg_lo:[0,1] neg_hi:[0,1]
	v_pk_add_f16 v147, v147, v120
	v_pk_fma_f16 v120, 0x3aee, v173, v151 op_sel:[0,0,1] op_sel_hi:[0,1,0]
	v_pk_fma_f16 v148, 0x3aee, v173, v151 op_sel:[0,0,1] op_sel_hi:[0,1,0] neg_lo:[0,1,0] neg_hi:[0,1,0]
	v_pk_add_f16 v150, v157, v153 neg_lo:[0,1] neg_hi:[0,1]
	v_pk_add_f16 v151, v157, v153
	v_pk_fma_f16 v153, 0x3aee, v154, v160 op_sel:[0,0,1] op_sel_hi:[0,1,0] neg_lo:[0,1,0] neg_hi:[0,1,0]
	v_pk_fma_f16 v157, 0x3aee, v154, v160 op_sel:[0,0,1] op_sel_hi:[0,1,0]
	v_pk_fma_f16 v160, 0x3aee, v158, v159 op_sel:[0,0,1] op_sel_hi:[0,1,0] neg_lo:[0,1,0] neg_hi:[0,1,0]
	v_pk_fma_f16 v166, 0x3aee, v158, v159 op_sel:[0,0,1] op_sel_hi:[0,1,0]
	v_pk_add_f16 v154, v155, v156 neg_lo:[0,1] neg_hi:[0,1]
	v_pk_add_f16 v155, v155, v156
	v_lshrrev_b32_e32 v156, 16, v108
	v_mul_f16_e32 v158, 0xbaee, v161
	v_pk_mul_f16 v159, 0x3aee, v108 op_sel_hi:[0,1]
	v_pk_fma_f16 v162, 0x3aee, v167, v149 op_sel:[0,0,1] op_sel_hi:[0,1,0] neg_lo:[0,1,0] neg_hi:[0,1,0]
	v_pk_fma_f16 v149, 0x3aee, v167, v149 op_sel:[0,0,1] op_sel_hi:[0,1,0]
	v_lshrrev_b32_e32 v167, 16, v161
	v_lshrrev_b32_e32 v170, 16, v117
	v_mul_f16_e32 v171, 0xbaee, v145
	v_pk_mul_f16 v172, 0x3aee, v117 op_sel_hi:[0,1]
	v_lshrrev_b32_e32 v173, 16, v145
	v_mul_f16_e32 v117, -0.5, v117
	v_lshrrev_b32_e32 v176, 16, v148
	v_mul_f16_e32 v177, 0xbaee, v120
	v_pk_mul_f16 v178, 0x3aee, v148 op_sel_hi:[0,1]
	v_fmac_f16_e32 v158, 0.5, v156
	v_pk_fma_f16 v156, 0xb8003800, v161, v159 op_sel:[0,0,1] op_sel_hi:[1,1,0]
	v_pk_fma_f16 v159, 0xb8003800, v161, v159 op_sel:[0,0,1] op_sel_hi:[1,1,0] neg_lo:[0,0,1] neg_hi:[0,0,1]
	v_lshrrev_b32_e32 v161, 16, v120
	v_mul_f16_e32 v148, -0.5, v148
	v_mul_f16_e32 v108, -0.5, v108
	v_fmac_f16_e32 v171, 0.5, v170
	v_pk_fma_f16 v170, 0xb8003800, v145, v172 op_sel:[0,0,1] op_sel_hi:[1,1,0]
	v_pk_fma_f16 v145, 0xb8003800, v145, v172 op_sel:[0,0,1] op_sel_hi:[1,1,0] neg_lo:[0,0,1] neg_hi:[0,0,1]
	v_lshrrev_b32_e32 v172, 16, v153
	v_fmac_f16_e32 v117, 0x3aee, v173
	v_mul_f16_e32 v173, 0xbaee, v157
	v_fmac_f16_e32 v177, 0.5, v176
	v_pk_fma_f16 v176, 0xb8003800, v120, v178 op_sel:[0,0,1] op_sel_hi:[1,1,0]
	v_pk_fma_f16 v120, 0xb8003800, v120, v178 op_sel:[0,0,1] op_sel_hi:[1,1,0] neg_lo:[0,0,1] neg_hi:[0,0,1]
	v_pk_mul_f16 v178, 0x3aee, v153 op_sel_hi:[0,1]
	v_fmac_f16_e32 v148, 0x3aee, v161
	v_lshrrev_b32_e32 v161, 16, v157
	v_mul_f16_e32 v153, -0.5, v153
	v_fmac_f16_e32 v108, 0x3aee, v167
	v_pk_fma_f16 v165, 0x3aee, v175, v152 op_sel:[0,0,1] op_sel_hi:[0,1,0] neg_lo:[0,1,0] neg_hi:[0,1,0]
	v_fmac_f16_e32 v173, 0.5, v172
	v_pk_fma_f16 v172, 0xb8003800, v157, v178 op_sel:[0,0,1] op_sel_hi:[1,1,0]
	v_pk_fma_f16 v157, 0xb8003800, v157, v178 op_sel:[0,0,1] op_sel_hi:[1,1,0] neg_lo:[0,0,1] neg_hi:[0,0,1]
	v_fmac_f16_e32 v153, 0x3aee, v161
	v_bfi_b32 v161, 0xffff, v156, v159
	v_pk_fma_f16 v152, 0x3aee, v175, v152 op_sel:[0,0,1] op_sel_hi:[0,1,0]
	v_alignbit_b32 v168, v149, v162, 16
	v_alignbit_b32 v169, v162, v149, 16
	v_pack_b32_f16 v156, v158, v156
	v_add_f16_sdwa v179, v162, v158 dst_sel:DWORD dst_unused:UNUSED_PAD src0_sel:WORD_1 src1_sel:DWORD
	v_add_f16_e32 v180, v162, v108
	v_alignbit_b32 v108, v108, v159, 16
	v_bfi_b32 v158, 0xffff, v170, v145
	v_alignbit_b32 v174, v164, v163, 16
	v_alignbit_b32 v175, v163, v164, 16
	v_pack_b32_f16 v159, v171, v170
	v_add_f16_sdwa v170, v163, v171 dst_sel:DWORD dst_unused:UNUSED_PAD src0_sel:WORD_1 src1_sel:DWORD
	v_add_f16_e32 v163, v163, v117
	v_alignbit_b32 v117, v117, v145, 16
	v_bfi_b32 v145, 0xffff, v176, v120
	v_pack_b32_f16 v162, v177, v176
	v_add_f16_sdwa v171, v165, v177 dst_sel:DWORD dst_unused:UNUSED_PAD src0_sel:WORD_1 src1_sel:DWORD
	v_pk_add_f16 v177, v149, v161
	v_bfi_b32 v161, 0xffff, v172, v157
	v_alignbit_b32 v178, v165, v152, 16
	v_alignbit_b32 v120, v148, v120, 16
	;; [unrolled: 1-line block ×3, first 2 shown]
	v_add_f16_e32 v165, v165, v148
	v_pk_add_f16 v148, v168, v156 neg_lo:[0,1] neg_hi:[0,1]
	v_pk_add_f16 v149, v169, v108 neg_lo:[0,1] neg_hi:[0,1]
	v_pk_add_f16 v108, v164, v158
	v_pk_add_f16 v152, v152, v145
	v_alignbit_b32 v181, v153, v157, 16
	v_add_f16_e32 v153, v160, v153
	v_pk_add_f16 v156, v166, v161
	v_alignbit_b32 v176, v166, v160, 16
	v_pack_b32_f16 v172, v173, v172
	v_add_f16_sdwa v173, v160, v173 dst_sel:DWORD dst_unused:UNUSED_PAD src0_sel:WORD_1 src1_sel:DWORD
	v_alignbit_b32 v182, v160, v166, 16
	v_pk_add_f16 v158, v175, v117 neg_lo:[0,1] neg_hi:[0,1]
	v_pk_add_f16 v160, v178, v120 neg_lo:[0,1] neg_hi:[0,1]
	v_alignbit_b32 v117, v180, v177, 16
	v_pack_b32_f16 v120, v179, v177
	ds_write_b64 v109, v[148:149] offset:16
	v_alignbit_b32 v145, v163, v108, 16
	v_pack_b32_f16 v148, v170, v108
	v_pk_add_f16 v157, v174, v159 neg_lo:[0,1] neg_hi:[0,1]
	v_alignbit_b32 v149, v165, v152, 16
	v_pack_b32_f16 v152, v171, v152
	v_pk_add_f16 v159, v167, v162 neg_lo:[0,1] neg_hi:[0,1]
	v_alignbit_b32 v153, v153, v156, 16
	v_pk_add_f16 v161, v176, v172 neg_lo:[0,1] neg_hi:[0,1]
	v_pk_add_f16 v162, v182, v181 neg_lo:[0,1] neg_hi:[0,1]
	v_pack_b32_f16 v156, v173, v156
	ds_write2_b64 v109, v[119:120], v[117:118] offset1:1
	ds_write2_b64 v111, v[147:148], v[145:146] offset1:1
	ds_write_b64 v111, v[157:158] offset:16
	ds_write2_b64 v110, v[151:152], v[149:150] offset1:1
	ds_write_b64 v110, v[159:160] offset:16
	;; [unrolled: 2-line block ×3, first 2 shown]
	s_waitcnt lgkmcnt(0)
	s_barrier
	buffer_gl0_inv
	ds_read2_b32 v[109:110], v106 offset0:64 offset1:208
	ds_read2_b32 v[117:118], v105 offset1:144
	ds_read2_b32 v[119:120], v104 offset0:64 offset1:208
	ds_read2_b32 v[145:146], v103 offset1:144
	ds_read2_b32 v[147:148], v88 offset0:96 offset1:240
	ds_read2_b32 v[149:150], v86 offset0:32 offset1:176
	;; [unrolled: 1-line block ×4, first 2 shown]
	s_waitcnt lgkmcnt(7)
	v_lshrrev_b32_e32 v108, 16, v109
	s_waitcnt lgkmcnt(6)
	v_lshrrev_b32_e32 v122, 16, v117
	v_mul_f16_sdwa v155, v17, v117 dst_sel:DWORD dst_unused:UNUSED_PAD src0_sel:WORD_1 src1_sel:DWORD
	s_waitcnt lgkmcnt(5)
	v_lshrrev_b32_e32 v156, 16, v119
	v_mul_f16_sdwa v157, v18, v119 dst_sel:DWORD dst_unused:UNUSED_PAD src0_sel:WORD_1 src1_sel:DWORD
	v_mul_f16_sdwa v111, v16, v109 dst_sel:DWORD dst_unused:UNUSED_PAD src0_sel:WORD_1 src1_sel:DWORD
	s_waitcnt lgkmcnt(4)
	v_lshrrev_b32_e32 v158, 16, v145
	v_mul_f16_sdwa v159, v19, v145 dst_sel:DWORD dst_unused:UNUSED_PAD src0_sel:WORD_1 src1_sel:DWORD
	v_lshrrev_b32_e32 v160, 16, v110
	v_lshrrev_b32_e32 v162, 16, v118
	;; [unrolled: 1-line block ×4, first 2 shown]
	v_mul_f16_sdwa v167, v16, v108 dst_sel:DWORD dst_unused:UNUSED_PAD src0_sel:WORD_1 src1_sel:DWORD
	v_fma_f16 v155, v17, v122, -v155
	v_mul_f16_sdwa v122, v17, v122 dst_sel:DWORD dst_unused:UNUSED_PAD src0_sel:WORD_1 src1_sel:DWORD
	v_fma_f16 v157, v18, v156, -v157
	v_mul_f16_sdwa v156, v18, v156 dst_sel:DWORD dst_unused:UNUSED_PAD src0_sel:WORD_1 src1_sel:DWORD
	v_mul_f16_sdwa v161, v12, v110 dst_sel:DWORD dst_unused:UNUSED_PAD src0_sel:WORD_1 src1_sel:DWORD
	;; [unrolled: 1-line block ×4, first 2 shown]
	v_fma_f16 v111, v16, v108, -v111
	v_fma_f16 v159, v19, v158, -v159
	v_mul_f16_sdwa v158, v19, v158 dst_sel:DWORD dst_unused:UNUSED_PAD src0_sel:WORD_1 src1_sel:DWORD
	v_mul_f16_sdwa v108, v12, v160 dst_sel:DWORD dst_unused:UNUSED_PAD src0_sel:WORD_1 src1_sel:DWORD
	;; [unrolled: 1-line block ×5, first 2 shown]
	v_fmac_f16_e32 v167, v16, v109
	v_fmac_f16_e32 v122, v17, v117
	;; [unrolled: 1-line block ×3, first 2 shown]
	v_mul_f16_sdwa v16, v15, v146 dst_sel:DWORD dst_unused:UNUSED_PAD src0_sel:WORD_1 src1_sel:DWORD
	s_waitcnt lgkmcnt(3)
	v_lshrrev_b32_e32 v17, 16, v147
	v_mul_f16_sdwa v18, v8, v147 dst_sel:DWORD dst_unused:UNUSED_PAD src0_sel:WORD_1 src1_sel:DWORD
	v_fmac_f16_e32 v158, v19, v145
	v_fmac_f16_e32 v108, v12, v110
	;; [unrolled: 1-line block ×5, first 2 shown]
	v_fma_f16 v19, v12, v160, -v161
	v_fma_f16 v145, v13, v162, -v163
	;; [unrolled: 1-line block ×5, first 2 shown]
	v_mul_f16_sdwa v12, v8, v17 dst_sel:DWORD dst_unused:UNUSED_PAD src0_sel:WORD_1 src1_sel:DWORD
	s_waitcnt lgkmcnt(2)
	v_lshrrev_b32_e32 v14, 16, v149
	v_mul_f16_sdwa v15, v9, v149 dst_sel:DWORD dst_unused:UNUSED_PAD src0_sel:WORD_1 src1_sel:DWORD
	s_waitcnt lgkmcnt(1)
	v_lshrrev_b32_e32 v16, 16, v151
	;; [unrolled: 3-line block ×3, first 2 shown]
	v_mul_f16_sdwa v109, v11, v153 dst_sel:DWORD dst_unused:UNUSED_PAD src0_sel:WORD_1 src1_sel:DWORD
	v_fma_f16 v18, v9, v14, -v15
	v_lshrrev_b32_e32 v119, 16, v148
	v_fma_f16 v15, v10, v16, -v17
	v_mul_f16_sdwa v161, v11, v117 dst_sel:DWORD dst_unused:UNUSED_PAD src0_sel:WORD_1 src1_sel:DWORD
	v_fma_f16 v17, v11, v117, -v109
	ds_read2_b32 v[109:110], v102 offset0:64 offset1:208
	ds_read2_b32 v[117:118], v99 offset1:144
	v_mul_f16_sdwa v16, v10, v16 dst_sel:DWORD dst_unused:UNUSED_PAD src0_sel:WORD_1 src1_sel:DWORD
	v_mul_f16_sdwa v14, v9, v14 dst_sel:DWORD dst_unused:UNUSED_PAD src0_sel:WORD_1 src1_sel:DWORD
	v_fmac_f16_e32 v12, v8, v147
	v_mul_f16_sdwa v8, v0, v119 dst_sel:DWORD dst_unused:UNUSED_PAD src0_sel:WORD_1 src1_sel:DWORD
	v_fmac_f16_e32 v161, v11, v153
	v_fmac_f16_e32 v16, v10, v151
	;; [unrolled: 1-line block ×3, first 2 shown]
	v_lshrrev_b32_e32 v149, 16, v154
	v_fmac_f16_e32 v8, v0, v148
	v_mul_f16_sdwa v148, v0, v148 dst_sel:DWORD dst_unused:UNUSED_PAD src0_sel:WORD_1 src1_sel:DWORD
	v_lshrrev_b32_e32 v120, 16, v150
	v_lshrrev_b32_e32 v147, 16, v152
	v_mul_f16_sdwa v10, v3, v149 dst_sel:DWORD dst_unused:UNUSED_PAD src0_sel:WORD_1 src1_sel:DWORD
	v_fma_f16 v0, v0, v119, -v148
	v_sub_f16_e32 v148, v155, v159
	v_mul_f16_sdwa v9, v1, v120 dst_sel:DWORD dst_unused:UNUSED_PAD src0_sel:WORD_1 src1_sel:DWORD
	v_fmac_f16_e32 v10, v3, v154
	s_waitcnt lgkmcnt(1)
	v_lshrrev_b32_e32 v151, 16, v109
	v_mul_f16_sdwa v153, v127, v109 dst_sel:DWORD dst_unused:UNUSED_PAD src0_sel:WORD_1 src1_sel:DWORD
	s_waitcnt lgkmcnt(0)
	v_lshrrev_b32_e32 v162, 16, v117
	v_mul_f16_sdwa v11, v2, v147 dst_sel:DWORD dst_unused:UNUSED_PAD src0_sel:WORD_1 src1_sel:DWORD
	v_fmac_f16_e32 v9, v1, v150
	v_mul_f16_sdwa v163, v127, v151 dst_sel:DWORD dst_unused:UNUSED_PAD src0_sel:WORD_1 src1_sel:DWORD
	v_fma_f16 v151, v127, v151, -v153
	v_add_f16_e32 v119, v162, v155
	v_mul_f16_sdwa v153, v3, v154 dst_sel:DWORD dst_unused:UNUSED_PAD src0_sel:WORD_1 src1_sel:DWORD
	v_mul_f16_sdwa v150, v1, v150 dst_sel:DWORD dst_unused:UNUSED_PAD src0_sel:WORD_1 src1_sel:DWORD
	v_fmac_f16_e32 v163, v127, v109
	v_add_f16_e32 v109, v157, v151
	v_add_f16_e32 v127, v155, v159
	;; [unrolled: 1-line block ×4, first 2 shown]
	v_sub_f16_e32 v155, v156, v163
	v_fmac_f16_e32 v111, -0.5, v109
	v_add_f16_e32 v109, v156, v163
	v_fmac_f16_e32 v162, -0.5, v127
	v_add_f16_e32 v127, v117, v122
	v_add_f16_e32 v156, v167, v156
	v_sub_f16_e32 v157, v157, v151
	v_fmac_f16_e32 v167, -0.5, v109
	v_fmamk_f16 v109, v155, 0x3aee, v111
	v_add_f16_e32 v159, v122, v158
	v_add_f16_e32 v127, v127, v158
	v_sub_f16_e32 v122, v122, v158
	v_fmamk_f16 v164, v157, 0xbaee, v167
	v_mul_f16_e32 v158, 0xbaee, v109
	v_mul_f16_e32 v109, 0.5, v109
	v_fma_f16 v117, -0.5, v159, v117
	v_add_f16_e32 v156, v156, v163
	v_add_f16_e32 v151, v119, v151
	v_fmac_f16_e32 v158, 0.5, v164
	v_fmac_f16_e32 v109, 0x3aee, v164
	v_fmamk_f16 v159, v148, 0xbaee, v117
	v_fmamk_f16 v163, v122, 0x3aee, v162
	v_fmac_f16_e32 v111, 0xbaee, v155
	v_fmac_f16_e32 v11, v2, v152
	v_mul_f16_sdwa v152, v2, v152 dst_sel:DWORD dst_unused:UNUSED_PAD src0_sel:WORD_1 src1_sel:DWORD
	v_fma_f16 v150, v1, v120, -v150
	v_add_f16_e32 v1, v127, v156
	v_add_f16_e32 v119, v154, v151
	;; [unrolled: 1-line block ×4, first 2 shown]
	v_fma_f16 v3, v3, v149, -v153
	v_fmac_f16_e32 v167, 0x3aee, v157
	v_mul_f16_e32 v153, 0xbaee, v111
	v_mul_f16_e32 v111, -0.5, v111
	v_fma_f16 v147, v2, v147, -v152
	v_pack_b32_f16 v149, v1, v119
	v_pack_b32_f16 v152, v120, v164
	v_fmac_f16_e32 v117, 0x3aee, v148
	v_fmac_f16_e32 v162, 0xbaee, v122
	v_fmac_f16_e32 v153, -0.5, v167
	v_fmac_f16_e32 v111, 0x3aee, v167
	ds_read2_b32 v[1:2], v91 offset0:32 offset1:176
	ds_read2_b32 v[119:120], v81 offset0:96 offset1:240
	s_waitcnt lgkmcnt(0)
	s_barrier
	buffer_gl0_inv
	v_sub_f16_e32 v122, v127, v156
	v_add_f16_e32 v127, v117, v153
	v_add_f16_e32 v148, v162, v111
	v_sub_f16_e32 v151, v154, v151
	v_lshrrev_b32_e32 v154, 16, v110
	ds_write2_b32 v116, v149, v152 offset1:6
	v_mul_f16_sdwa v149, v115, v110 dst_sel:DWORD dst_unused:UNUSED_PAD src0_sel:WORD_1 src1_sel:DWORD
	v_pack_b32_f16 v127, v127, v148
	v_sub_f16_e32 v117, v117, v153
	v_mul_f16_sdwa v148, v115, v154 dst_sel:DWORD dst_unused:UNUSED_PAD src0_sel:WORD_1 src1_sel:DWORD
	v_lshrrev_b32_e32 v152, 16, v118
	v_fma_f16 v149, v115, v154, -v149
	v_add_f16_e32 v154, v19, v146
	v_add_f16_e32 v155, v118, v168
	v_fmac_f16_e32 v148, v115, v110
	v_sub_f16_e32 v110, v162, v111
	v_add_f16_e32 v111, v146, v149
	v_add_f16_e32 v115, v168, v170
	;; [unrolled: 1-line block ×4, first 2 shown]
	v_pack_b32_f16 v122, v122, v151
	v_fmac_f16_e32 v19, -0.5, v111
	v_sub_f16_e32 v111, v169, v148
	v_fmac_f16_e32 v118, -0.5, v115
	v_fmac_f16_e32 v108, -0.5, v153
	v_sub_f16_e32 v151, v159, v158
	v_sub_f16_e32 v109, v163, v109
	v_fmamk_f16 v153, v111, 0x3aee, v19
	v_fmac_f16_e32 v19, 0xbaee, v111
	v_sub_f16_e32 v111, v145, v160
	v_sub_f16_e32 v146, v146, v149
	v_pack_b32_f16 v110, v117, v110
	v_pack_b32_f16 v109, v151, v109
	ds_write2_b32 v116, v127, v122 offset0:12 offset1:18
	ds_write2_b32 v116, v109, v110 offset0:24 offset1:30
	v_fmamk_f16 v117, v111, 0xbaee, v118
	v_fmac_f16_e32 v118, 0x3aee, v111
	v_add_f16_e32 v111, v152, v145
	v_add_f16_e32 v145, v145, v160
	v_fmamk_f16 v115, v146, 0xbaee, v108
	v_mul_f16_e32 v116, 0xbaee, v153
	v_mul_f16_e32 v122, 0.5, v153
	v_sub_f16_e32 v127, v168, v170
	v_fmac_f16_e32 v152, -0.5, v145
	v_fmac_f16_e32 v108, 0x3aee, v146
	v_mul_f16_e32 v146, 0xbaee, v19
	v_add_f16_e32 v110, v111, v160
	v_add_f16_e32 v111, v155, v170
	;; [unrolled: 1-line block ×4, first 2 shown]
	v_fmac_f16_e32 v116, 0.5, v115
	v_fmac_f16_e32 v122, 0x3aee, v115
	v_fmamk_f16 v115, v127, 0x3aee, v152
	v_mul_f16_e32 v19, -0.5, v19
	v_fmac_f16_e32 v146, -0.5, v108
	v_add_f16_e32 v149, v111, v145
	v_add_f16_e32 v151, v110, v148
	;; [unrolled: 1-line block ×4, first 2 shown]
	v_fmac_f16_e32 v152, 0xbaee, v127
	v_fmac_f16_e32 v19, 0x3aee, v108
	v_add_f16_e32 v109, v118, v146
	v_sub_f16_e32 v118, v118, v146
	v_pack_b32_f16 v108, v149, v151
	v_pack_b32_f16 v127, v153, v154
	v_sub_f16_e32 v111, v111, v145
	v_sub_f16_e32 v110, v110, v148
	v_add_f16_e32 v145, v152, v19
	v_sub_f16_e32 v116, v117, v116
	v_sub_f16_e32 v115, v115, v122
	;; [unrolled: 1-line block ×3, first 2 shown]
	ds_write2_b32 v114, v108, v127 offset1:6
	v_pack_b32_f16 v108, v109, v145
	v_pack_b32_f16 v109, v111, v110
	;; [unrolled: 1-line block ×3, first 2 shown]
	v_lshrrev_b32_e32 v111, 16, v119
	v_pack_b32_f16 v19, v118, v19
	v_mul_f16_sdwa v115, v113, v119 dst_sel:DWORD dst_unused:UNUSED_PAD src0_sel:WORD_1 src1_sel:DWORD
	v_lshrrev_b32_e32 v116, 16, v1
	ds_write2_b32 v114, v108, v109 offset0:12 offset1:18
	v_mul_f16_sdwa v108, v113, v111 dst_sel:DWORD dst_unused:UNUSED_PAD src0_sel:WORD_1 src1_sel:DWORD
	ds_write2_b32 v114, v110, v19 offset0:24 offset1:30
	v_fma_f16 v19, v113, v111, -v115
	v_add_f16_e32 v109, v116, v18
	v_add_f16_e32 v110, v18, v17
	v_fmac_f16_e32 v108, v113, v119
	v_sub_f16_e32 v18, v18, v17
	v_add_f16_e32 v111, v15, v19
	v_add_f16_e32 v17, v109, v17
	v_fmac_f16_e32 v116, -0.5, v110
	v_add_f16_e32 v109, v1, v14
	v_add_f16_e32 v110, v13, v15
	v_fmac_f16_e32 v13, -0.5, v111
	v_add_f16_e32 v111, v16, v108
	v_sub_f16_e32 v113, v16, v108
	v_add_f16_e32 v16, v12, v16
	v_add_f16_e32 v109, v109, v161
	;; [unrolled: 1-line block ×3, first 2 shown]
	v_fmac_f16_e32 v12, -0.5, v111
	v_fmamk_f16 v111, v113, 0x3aee, v13
	v_sub_f16_e32 v15, v15, v19
	v_add_f16_e32 v16, v16, v108
	v_add_f16_e32 v19, v110, v19
	v_sub_f16_e32 v14, v14, v161
	v_mul_f16_e32 v108, 0xbaee, v111
	v_fmamk_f16 v110, v15, 0xbaee, v12
	v_mul_f16_e32 v111, 0.5, v111
	v_add_f16_e32 v115, v109, v16
	v_fma_f16 v1, -0.5, v114, v1
	v_add_f16_e32 v114, v17, v19
	v_fmac_f16_e32 v108, 0.5, v110
	v_fmac_f16_e32 v111, 0x3aee, v110
	v_fmac_f16_e32 v13, 0xbaee, v113
	v_fmamk_f16 v110, v18, 0xbaee, v1
	v_pack_b32_f16 v113, v115, v114
	v_fmamk_f16 v114, v14, 0x3aee, v116
	v_fmac_f16_e32 v12, 0x3aee, v15
	v_mul_f16_e32 v15, 0xbaee, v13
	v_add_f16_e32 v115, v110, v108
	v_mul_f16_e32 v13, -0.5, v13
	v_add_f16_e32 v117, v114, v111
	v_fmac_f16_e32 v1, 0x3aee, v18
	v_fmac_f16_e32 v15, -0.5, v12
	v_lshrrev_b32_e32 v18, 16, v120
	v_fmac_f16_e32 v13, 0x3aee, v12
	v_pack_b32_f16 v12, v115, v117
	v_mul_f16_sdwa v115, v112, v120 dst_sel:DWORD dst_unused:UNUSED_PAD src0_sel:WORD_1 src1_sel:DWORD
	v_fmac_f16_e32 v116, 0xbaee, v14
	v_sub_f16_e32 v14, v109, v16
	v_add_f16_e32 v16, v1, v15
	ds_write2_b32 v124, v113, v12 offset1:6
	v_mul_f16_sdwa v12, v112, v18 dst_sel:DWORD dst_unused:UNUSED_PAD src0_sel:WORD_1 src1_sel:DWORD
	v_fma_f16 v18, v112, v18, -v115
	v_sub_f16_e32 v17, v17, v19
	v_sub_f16_e32 v1, v1, v15
	v_add_f16_e32 v109, v116, v13
	v_fmac_f16_e32 v12, v112, v120
	v_add_f16_e32 v15, v147, v18
	v_pack_b32_f16 v14, v14, v17
	v_sub_f16_e32 v17, v110, v108
	v_add_f16_e32 v19, v9, v10
	v_add_f16_e32 v110, v0, v147
	v_fmac_f16_e32 v0, -0.5, v15
	v_sub_f16_e32 v15, v11, v12
	v_pack_b32_f16 v16, v16, v109
	v_lshrrev_b32_e32 v108, 16, v2
	v_add_f16_e32 v109, v11, v12
	v_add_f16_e32 v112, v2, v9
	v_fmamk_f16 v113, v15, 0x3aee, v0
	v_fmac_f16_e32 v0, 0xbaee, v15
	v_fmac_f16_e32 v2, -0.5, v19
	v_sub_f16_e32 v15, v150, v3
	v_sub_f16_e32 v111, v114, v111
	v_add_f16_e32 v11, v8, v11
	v_fmac_f16_e32 v8, -0.5, v109
	v_sub_f16_e32 v109, v147, v18
	v_fmamk_f16 v114, v15, 0xbaee, v2
	v_fmac_f16_e32 v2, 0x3aee, v15
	v_pack_b32_f16 v15, v17, v111
	v_add_f16_e32 v17, v108, v150
	v_add_f16_e32 v111, v150, v3
	v_fmamk_f16 v19, v109, 0xbaee, v8
	v_fmac_f16_e32 v8, 0x3aee, v109
	v_mul_f16_e32 v109, 0xbaee, v0
	v_add_f16_e32 v3, v17, v3
	v_fmac_f16_e32 v108, -0.5, v111
	v_add_f16_e32 v17, v112, v10
	v_add_f16_e32 v11, v11, v12
	;; [unrolled: 1-line block ×3, first 2 shown]
	v_mul_f16_e32 v18, 0xbaee, v113
	v_sub_f16_e32 v9, v9, v10
	v_mul_f16_e32 v10, 0.5, v113
	v_mul_f16_e32 v0, -0.5, v0
	v_sub_f16_e32 v13, v116, v13
	v_fmac_f16_e32 v109, -0.5, v8
	v_fmac_f16_e32 v18, 0.5, v19
	v_fmac_f16_e32 v10, 0x3aee, v19
	v_fmamk_f16 v19, v9, 0x3aee, v108
	v_fmac_f16_e32 v108, 0xbaee, v9
	v_fmac_f16_e32 v0, 0x3aee, v8
	v_pack_b32_f16 v1, v1, v13
	v_add_f16_e32 v13, v2, v109
	v_sub_f16_e32 v2, v2, v109
	v_add_f16_e32 v109, v17, v11
	v_add_f16_e32 v110, v3, v12
	;; [unrolled: 1-line block ×4, first 2 shown]
	v_sub_f16_e32 v11, v17, v11
	v_sub_f16_e32 v3, v3, v12
	v_add_f16_e32 v12, v108, v0
	v_sub_f16_e32 v17, v114, v18
	v_sub_f16_e32 v10, v19, v10
	;; [unrolled: 1-line block ×3, first 2 shown]
	v_pack_b32_f16 v109, v109, v110
	v_pack_b32_f16 v8, v8, v9
	;; [unrolled: 1-line block ×6, first 2 shown]
	ds_write2_b32 v124, v16, v14 offset0:12 offset1:18
	ds_write2_b32 v124, v15, v1 offset0:24 offset1:30
	ds_write2_b32 v128, v109, v8 offset1:6
	ds_write2_b32 v128, v9, v3 offset0:12 offset1:18
	ds_write2_b32 v128, v10, v0 offset0:24 offset1:30
	s_waitcnt lgkmcnt(0)
	s_barrier
	buffer_gl0_inv
	ds_read2_b32 v[0:1], v106 offset0:64 offset1:208
	ds_read2_b32 v[2:3], v105 offset1:144
	ds_read2_b32 v[8:9], v104 offset0:64 offset1:208
	ds_read2_b32 v[11:12], v103 offset1:144
	ds_read2_b32 v[18:19], v88 offset0:96 offset1:240
	s_waitcnt lgkmcnt(4)
	v_lshrrev_b32_e32 v10, 16, v0
	v_mul_f16_sdwa v13, v28, v0 dst_sel:DWORD dst_unused:UNUSED_PAD src0_sel:WORD_1 src1_sel:DWORD
	s_waitcnt lgkmcnt(3)
	v_lshrrev_b32_e32 v14, 16, v2
	v_mul_f16_sdwa v15, v29, v2 dst_sel:DWORD dst_unused:UNUSED_PAD src0_sel:WORD_1 src1_sel:DWORD
	s_waitcnt lgkmcnt(1)
	v_mul_f16_sdwa v16, v31, v11 dst_sel:DWORD dst_unused:UNUSED_PAD src0_sel:WORD_1 src1_sel:DWORD
	v_mul_f16_sdwa v109, v28, v10 dst_sel:DWORD dst_unused:UNUSED_PAD src0_sel:WORD_1 src1_sel:DWORD
	v_fma_f16 v108, v28, v10, -v13
	v_lshrrev_b32_e32 v10, 16, v8
	v_mul_f16_sdwa v13, v30, v8 dst_sel:DWORD dst_unused:UNUSED_PAD src0_sel:WORD_1 src1_sel:DWORD
	v_fma_f16 v110, v29, v14, -v15
	v_lshrrev_b32_e32 v15, 16, v11
	v_mul_f16_sdwa v111, v29, v14 dst_sel:DWORD dst_unused:UNUSED_PAD src0_sel:WORD_1 src1_sel:DWORD
	v_mul_f16_sdwa v113, v30, v10 dst_sel:DWORD dst_unused:UNUSED_PAD src0_sel:WORD_1 src1_sel:DWORD
	v_fma_f16 v112, v30, v10, -v13
	v_lshrrev_b32_e32 v13, 16, v1
	v_mul_f16_sdwa v115, v31, v15 dst_sel:DWORD dst_unused:UNUSED_PAD src0_sel:WORD_1 src1_sel:DWORD
	v_fma_f16 v114, v31, v15, -v16
	v_fmac_f16_e32 v113, v30, v8
	v_fmac_f16_e32 v109, v28, v0
	v_mul_f16_sdwa v10, v24, v13 dst_sel:DWORD dst_unused:UNUSED_PAD src0_sel:WORD_1 src1_sel:DWORD
	v_fmac_f16_e32 v115, v31, v11
	ds_read2_b32 v[30:31], v82 offset0:32 offset1:176
	v_fmac_f16_e32 v111, v29, v2
	v_lshrrev_b32_e32 v0, 16, v3
	v_fmac_f16_e32 v10, v24, v1
	v_mul_f16_sdwa v8, v24, v1 dst_sel:DWORD dst_unused:UNUSED_PAD src0_sel:WORD_1 src1_sel:DWORD
	v_lshrrev_b32_e32 v11, 16, v9
	ds_read2_b32 v[1:2], v86 offset0:32 offset1:176
	v_lshrrev_b32_e32 v14, 16, v12
	v_mul_f16_sdwa v17, v25, v0 dst_sel:DWORD dst_unused:UNUSED_PAD src0_sel:WORD_1 src1_sel:DWORD
	ds_read2_b32 v[28:29], v84 offset0:96 offset1:240
	v_mul_f16_sdwa v116, v26, v11 dst_sel:DWORD dst_unused:UNUSED_PAD src0_sel:WORD_1 src1_sel:DWORD
	s_waitcnt lgkmcnt(3)
	v_lshrrev_b32_e32 v15, 16, v18
	v_mul_f16_sdwa v117, v27, v14 dst_sel:DWORD dst_unused:UNUSED_PAD src0_sel:WORD_1 src1_sel:DWORD
	v_fmac_f16_e32 v17, v25, v3
	v_mul_f16_sdwa v3, v25, v3 dst_sel:DWORD dst_unused:UNUSED_PAD src0_sel:WORD_1 src1_sel:DWORD
	v_fmac_f16_e32 v116, v26, v9
	v_mul_f16_sdwa v9, v26, v9 dst_sel:DWORD dst_unused:UNUSED_PAD src0_sel:WORD_1 src1_sel:DWORD
	v_mul_f16_sdwa v16, v20, v18 dst_sel:DWORD dst_unused:UNUSED_PAD src0_sel:WORD_1 src1_sel:DWORD
	v_fmac_f16_e32 v117, v27, v12
	v_mul_f16_sdwa v12, v27, v12 dst_sel:DWORD dst_unused:UNUSED_PAD src0_sel:WORD_1 src1_sel:DWORD
	v_fma_f16 v118, v24, v13, -v8
	v_fma_f16 v119, v25, v0, -v3
	v_fma_f16 v120, v26, v11, -v9
	v_fma_f16 v9, v20, v15, -v16
	v_mul_f16_sdwa v8, v20, v15 dst_sel:DWORD dst_unused:UNUSED_PAD src0_sel:WORD_1 src1_sel:DWORD
	s_waitcnt lgkmcnt(2)
	v_lshrrev_b32_e32 v26, 16, v30
	v_mul_f16_sdwa v15, v23, v30 dst_sel:DWORD dst_unused:UNUSED_PAD src0_sel:WORD_1 src1_sel:DWORD
	ds_read2_b32 v[24:25], v102 offset0:64 offset1:208
	v_fma_f16 v122, v27, v14, -v12
	s_waitcnt lgkmcnt(2)
	v_lshrrev_b32_e32 v0, 16, v1
	v_mul_f16_sdwa v124, v23, v26 dst_sel:DWORD dst_unused:UNUSED_PAD src0_sel:WORD_1 src1_sel:DWORD
	v_fma_f16 v15, v23, v26, -v15
	ds_read2_b32 v[26:27], v99 offset1:144
	s_waitcnt lgkmcnt(2)
	v_lshrrev_b32_e32 v11, 16, v28
	v_mul_f16_sdwa v12, v21, v0 dst_sel:DWORD dst_unused:UNUSED_PAD src0_sel:WORD_1 src1_sel:DWORD
	v_fmac_f16_e32 v8, v20, v18
	v_lshrrev_b32_e32 v18, 16, v2
	v_mul_f16_sdwa v3, v21, v1 dst_sel:DWORD dst_unused:UNUSED_PAD src0_sel:WORD_1 src1_sel:DWORD
	v_mul_f16_sdwa v13, v22, v28 dst_sel:DWORD dst_unused:UNUSED_PAD src0_sel:WORD_1 src1_sel:DWORD
	;; [unrolled: 1-line block ×3, first 2 shown]
	v_lshrrev_b32_e32 v127, 16, v19
	v_fmac_f16_e32 v12, v21, v1
	v_lshrrev_b32_e32 v20, 16, v29
	v_mul_f16_sdwa v1, v5, v18 dst_sel:DWORD dst_unused:UNUSED_PAD src0_sel:WORD_1 src1_sel:DWORD
	v_fma_f16 v16, v21, v0, -v3
	v_fma_f16 v13, v22, v11, -v13
	v_mul_f16_sdwa v0, v4, v127 dst_sel:DWORD dst_unused:UNUSED_PAD src0_sel:WORD_1 src1_sel:DWORD
	v_fmac_f16_e32 v14, v22, v28
	v_fmac_f16_e32 v124, v23, v30
	v_mul_f16_sdwa v11, v6, v20 dst_sel:DWORD dst_unused:UNUSED_PAD src0_sel:WORD_1 src1_sel:DWORD
	v_fmac_f16_e32 v1, v5, v2
	v_mul_f16_sdwa v22, v5, v2 dst_sel:DWORD dst_unused:UNUSED_PAD src0_sel:WORD_1 src1_sel:DWORD
	s_waitcnt lgkmcnt(1)
	v_lshrrev_b32_e32 v2, 16, v24
	v_mul_f16_sdwa v23, v130, v24 dst_sel:DWORD dst_unused:UNUSED_PAD src0_sel:WORD_1 src1_sel:DWORD
	v_fmac_f16_e32 v0, v4, v19
	v_mul_f16_sdwa v19, v4, v19 dst_sel:DWORD dst_unused:UNUSED_PAD src0_sel:WORD_1 src1_sel:DWORD
	v_fmac_f16_e32 v11, v6, v29
	v_mul_f16_sdwa v28, v6, v29 dst_sel:DWORD dst_unused:UNUSED_PAD src0_sel:WORD_1 src1_sel:DWORD
	s_waitcnt lgkmcnt(0)
	v_lshrrev_b32_e32 v29, 16, v26
	v_mul_f16_sdwa v30, v130, v2 dst_sel:DWORD dst_unused:UNUSED_PAD src0_sel:WORD_1 src1_sel:DWORD
	v_fma_f16 v23, v130, v2, -v23
	v_fma_f16 v2, v4, v127, -v19
	v_add_f16_e32 v128, v111, v115
	v_add_f16_e32 v4, v29, v110
	v_fmac_f16_e32 v30, v130, v24
	v_add_f16_e32 v19, v112, v23
	v_add_f16_e32 v24, v110, v114
	v_sub_f16_e32 v110, v110, v114
	v_add_f16_e32 v114, v4, v114
	v_add_f16_e32 v4, v108, v112
	v_fmac_f16_e32 v108, -0.5, v19
	v_add_f16_e32 v19, v113, v30
	v_sub_f16_e32 v127, v113, v30
	v_fmac_f16_e32 v29, -0.5, v24
	v_add_f16_e32 v24, v26, v111
	v_add_f16_e32 v113, v109, v113
	v_fmac_f16_e32 v109, -0.5, v19
	v_fmamk_f16 v19, v127, 0x3aee, v108
	v_sub_f16_e32 v112, v112, v23
	v_add_f16_e32 v24, v24, v115
	v_sub_f16_e32 v111, v111, v115
	v_fma_f16 v26, -0.5, v128, v26
	v_mul_f16_e32 v115, 0xbaee, v19
	v_fmamk_f16 v130, v112, 0xbaee, v109
	v_mul_f16_e32 v19, 0.5, v19
	v_lshrrev_b32_e32 v21, 16, v31
	v_add_f16_e32 v30, v113, v30
	v_add_f16_e32 v23, v4, v23
	v_fmac_f16_e32 v115, 0.5, v130
	v_fmac_f16_e32 v19, 0x3aee, v130
	v_fmamk_f16 v113, v110, 0xbaee, v26
	v_fmamk_f16 v128, v111, 0x3aee, v29
	v_mul_f16_sdwa v3, v7, v21 dst_sel:DWORD dst_unused:UNUSED_PAD src0_sel:WORD_1 src1_sel:DWORD
	v_fma_f16 v18, v5, v18, -v22
	v_add_f16_e32 v4, v24, v30
	v_add_f16_e32 v5, v114, v23
	;; [unrolled: 1-line block ×4, first 2 shown]
	v_fmac_f16_e32 v3, v7, v31
	v_mul_f16_sdwa v31, v7, v31 dst_sel:DWORD dst_unused:UNUSED_PAD src0_sel:WORD_1 src1_sel:DWORD
	v_fma_f16 v20, v6, v20, -v28
	v_pack_b32_f16 v28, v4, v5
	v_fmac_f16_e32 v108, 0xbaee, v127
	v_pack_b32_f16 v22, v22, v130
	v_fma_f16 v21, v7, v21, -v31
	ds_read2_b32 v[4:5], v91 offset0:32 offset1:176
	ds_read2_b32 v[6:7], v81 offset0:96 offset1:240
	v_fmac_f16_e32 v109, 0x3aee, v112
	v_mul_f16_e32 v31, 0xbaee, v108
	v_mul_f16_e32 v108, -0.5, v108
	s_waitcnt lgkmcnt(0)
	v_fmac_f16_e32 v26, 0x3aee, v110
	s_barrier
	buffer_gl0_inv
	v_sub_f16_e32 v24, v24, v30
	v_sub_f16_e32 v23, v114, v23
	v_lshrrev_b32_e32 v110, 16, v25
	ds_write2_b32 v126, v28, v22 offset1:36
	v_mul_f16_sdwa v22, v125, v25 dst_sel:DWORD dst_unused:UNUSED_PAD src0_sel:WORD_1 src1_sel:DWORD
	v_fmac_f16_e32 v29, 0xbaee, v111
	v_fmac_f16_e32 v108, 0x3aee, v109
	v_pack_b32_f16 v23, v24, v23
	v_mul_f16_sdwa v24, v125, v110 dst_sel:DWORD dst_unused:UNUSED_PAD src0_sel:WORD_1 src1_sel:DWORD
	v_fma_f16 v22, v125, v110, -v22
	v_fmac_f16_e32 v31, -0.5, v109
	v_add_f16_e32 v109, v29, v108
	v_add_f16_e32 v110, v118, v120
	v_fmac_f16_e32 v24, v125, v25
	v_sub_f16_e32 v25, v29, v108
	v_add_f16_e32 v29, v120, v22
	v_add_f16_e32 v30, v26, v31
	v_sub_f16_e32 v26, v26, v31
	v_add_f16_e32 v31, v17, v117
	v_sub_f16_e32 v19, v128, v19
	v_fmac_f16_e32 v118, -0.5, v29
	v_sub_f16_e32 v29, v116, v24
	v_pack_b32_f16 v28, v30, v109
	v_sub_f16_e32 v30, v113, v115
	v_lshrrev_b32_e32 v108, 16, v27
	v_add_f16_e32 v109, v116, v24
	v_add_f16_e32 v111, v27, v17
	v_fmamk_f16 v113, v29, 0x3aee, v118
	v_fmac_f16_e32 v118, 0xbaee, v29
	v_fmac_f16_e32 v27, -0.5, v31
	v_sub_f16_e32 v29, v119, v122
	v_add_f16_e32 v112, v10, v116
	v_fmac_f16_e32 v10, -0.5, v109
	v_sub_f16_e32 v109, v120, v22
	v_pack_b32_f16 v19, v30, v19
	v_pack_b32_f16 v25, v26, v25
	v_fmamk_f16 v26, v29, 0xbaee, v27
	v_fmac_f16_e32 v27, 0x3aee, v29
	v_add_f16_e32 v29, v108, v119
	v_add_f16_e32 v30, v119, v122
	v_fmamk_f16 v31, v109, 0xbaee, v10
	ds_write2_b32 v126, v28, v23 offset0:72 offset1:108
	ds_write2_b32 v126, v19, v25 offset0:144 offset1:180
	v_mul_f16_e32 v28, 0xbaee, v113
	v_add_f16_e32 v23, v29, v122
	v_fmac_f16_e32 v108, -0.5, v30
	v_mul_f16_e32 v29, 0.5, v113
	v_sub_f16_e32 v17, v17, v117
	v_add_f16_e32 v25, v111, v117
	v_add_f16_e32 v24, v112, v24
	;; [unrolled: 1-line block ×3, first 2 shown]
	v_fmac_f16_e32 v28, 0.5, v31
	v_fmac_f16_e32 v29, 0x3aee, v31
	v_fmamk_f16 v30, v17, 0x3aee, v108
	v_fmac_f16_e32 v10, 0x3aee, v109
	v_mul_f16_e32 v109, 0xbaee, v118
	v_add_f16_e32 v31, v25, v24
	v_add_f16_e32 v110, v23, v22
	v_mul_f16_e32 v111, -0.5, v118
	v_add_f16_e32 v112, v26, v28
	v_add_f16_e32 v113, v30, v29
	v_fmac_f16_e32 v109, -0.5, v10
	v_fmac_f16_e32 v108, 0xbaee, v17
	v_fmac_f16_e32 v111, 0x3aee, v10
	v_pack_b32_f16 v10, v31, v110
	v_pack_b32_f16 v17, v112, v113
	v_add_f16_e32 v19, v27, v109
	v_sub_f16_e32 v27, v27, v109
	v_sub_f16_e32 v24, v25, v24
	;; [unrolled: 1-line block ×3, first 2 shown]
	v_add_f16_e32 v23, v108, v111
	v_sub_f16_e32 v25, v26, v28
	v_sub_f16_e32 v26, v30, v29
	ds_write2_b32 v129, v10, v17 offset1:36
	v_sub_f16_e32 v10, v108, v111
	v_pack_b32_f16 v17, v19, v23
	v_pack_b32_f16 v19, v24, v22
	v_pack_b32_f16 v22, v25, v26
	v_lshrrev_b32_e32 v23, 16, v6
	v_pack_b32_f16 v10, v27, v10
	v_mul_f16_sdwa v24, v123, v6 dst_sel:DWORD dst_unused:UNUSED_PAD src0_sel:WORD_1 src1_sel:DWORD
	v_lshrrev_b32_e32 v25, 16, v4
	ds_write2_b32 v129, v17, v19 offset0:72 offset1:108
	v_mul_f16_sdwa v17, v123, v23 dst_sel:DWORD dst_unused:UNUSED_PAD src0_sel:WORD_1 src1_sel:DWORD
	ds_write2_b32 v129, v22, v10 offset0:144 offset1:180
	v_fma_f16 v10, v123, v23, -v24
	v_add_f16_e32 v19, v25, v16
	v_add_f16_e32 v22, v16, v15
	v_fmac_f16_e32 v17, v123, v6
	v_sub_f16_e32 v6, v16, v15
	v_add_f16_e32 v16, v13, v10
	v_add_f16_e32 v15, v19, v15
	v_fmac_f16_e32 v25, -0.5, v22
	v_add_f16_e32 v19, v4, v12
	v_add_f16_e32 v22, v9, v13
	v_fmac_f16_e32 v9, -0.5, v16
	v_add_f16_e32 v16, v14, v17
	v_sub_f16_e32 v23, v14, v17
	v_add_f16_e32 v14, v8, v14
	v_add_f16_e32 v19, v19, v124
	v_add_f16_e32 v24, v12, v124
	v_fmac_f16_e32 v8, -0.5, v16
	v_fmamk_f16 v16, v23, 0x3aee, v9
	v_sub_f16_e32 v13, v13, v10
	v_add_f16_e32 v14, v14, v17
	v_add_f16_e32 v10, v22, v10
	v_sub_f16_e32 v12, v12, v124
	v_mul_f16_e32 v17, 0xbaee, v16
	v_fmamk_f16 v22, v13, 0xbaee, v8
	v_mul_f16_e32 v16, 0.5, v16
	v_add_f16_e32 v26, v19, v14
	v_fma_f16 v4, -0.5, v24, v4
	v_add_f16_e32 v24, v15, v10
	v_fmac_f16_e32 v17, 0.5, v22
	v_fmac_f16_e32 v16, 0x3aee, v22
	v_fmac_f16_e32 v9, 0xbaee, v23
	v_fmamk_f16 v22, v6, 0xbaee, v4
	v_pack_b32_f16 v23, v26, v24
	v_fmamk_f16 v24, v12, 0x3aee, v25
	v_fmac_f16_e32 v8, 0x3aee, v13
	v_mul_f16_e32 v13, 0xbaee, v9
	v_add_f16_e32 v26, v22, v17
	v_mul_f16_e32 v9, -0.5, v9
	v_add_f16_e32 v27, v24, v16
	v_fmac_f16_e32 v4, 0x3aee, v6
	v_fmac_f16_e32 v13, -0.5, v8
	v_fmac_f16_e32 v25, 0xbaee, v12
	v_fmac_f16_e32 v9, 0x3aee, v8
	v_pack_b32_f16 v6, v26, v27
	v_sub_f16_e32 v8, v19, v14
	v_lshrrev_b32_e32 v14, 16, v7
	v_mul_f16_sdwa v26, v121, v7 dst_sel:DWORD dst_unused:UNUSED_PAD src0_sel:WORD_1 src1_sel:DWORD
	v_add_f16_e32 v12, v4, v13
	ds_write2_b32 v131, v23, v6 offset1:36
	v_add_f16_e32 v19, v25, v9
	v_mul_f16_sdwa v6, v121, v14 dst_sel:DWORD dst_unused:UNUSED_PAD src0_sel:WORD_1 src1_sel:DWORD
	v_fma_f16 v14, v121, v14, -v26
	v_sub_f16_e32 v10, v15, v10
	v_sub_f16_e32 v4, v4, v13
	v_pack_b32_f16 v12, v12, v19
	v_fmac_f16_e32 v6, v121, v7
	v_add_f16_e32 v7, v20, v14
	v_pack_b32_f16 v8, v8, v10
	v_sub_f16_e32 v10, v22, v17
	v_add_f16_e32 v13, v1, v3
	v_add_f16_e32 v17, v11, v6
	;; [unrolled: 1-line block ×3, first 2 shown]
	v_fmac_f16_e32 v2, -0.5, v7
	v_sub_f16_e32 v7, v11, v6
	v_lshrrev_b32_e32 v15, 16, v5
	v_add_f16_e32 v22, v5, v1
	v_add_f16_e32 v11, v0, v11
	v_fmac_f16_e32 v0, -0.5, v17
	v_sub_f16_e32 v17, v20, v14
	v_fmamk_f16 v20, v7, 0x3aee, v2
	v_fmac_f16_e32 v2, 0xbaee, v7
	v_fmac_f16_e32 v5, -0.5, v13
	v_sub_f16_e32 v7, v18, v21
	v_sub_f16_e32 v16, v24, v16
	v_fmamk_f16 v13, v17, 0xbaee, v0
	v_fmac_f16_e32 v0, 0x3aee, v17
	v_mul_f16_e32 v17, 0xbaee, v2
	v_fmamk_f16 v23, v7, 0xbaee, v5
	v_fmac_f16_e32 v5, 0x3aee, v7
	v_pack_b32_f16 v7, v10, v16
	v_add_f16_e32 v16, v18, v21
	v_add_f16_e32 v10, v15, v18
	;; [unrolled: 1-line block ×4, first 2 shown]
	v_mul_f16_e32 v14, 0xbaee, v20
	v_fmac_f16_e32 v15, -0.5, v16
	v_add_f16_e32 v16, v22, v3
	v_sub_f16_e32 v1, v1, v3
	v_mul_f16_e32 v3, 0.5, v20
	v_mul_f16_e32 v2, -0.5, v2
	v_sub_f16_e32 v9, v25, v9
	v_fmac_f16_e32 v17, -0.5, v0
	v_add_f16_e32 v10, v10, v21
	v_fmac_f16_e32 v14, 0.5, v13
	v_fmac_f16_e32 v3, 0x3aee, v13
	v_fmamk_f16 v13, v1, 0x3aee, v15
	v_fmac_f16_e32 v15, 0xbaee, v1
	v_fmac_f16_e32 v2, 0x3aee, v0
	v_pack_b32_f16 v4, v4, v9
	v_add_f16_e32 v9, v5, v17
	v_sub_f16_e32 v5, v5, v17
	v_add_f16_e32 v17, v16, v6
	v_add_f16_e32 v18, v10, v11
	;; [unrolled: 1-line block ×4, first 2 shown]
	v_sub_f16_e32 v6, v16, v6
	v_sub_f16_e32 v10, v10, v11
	v_add_f16_e32 v11, v15, v2
	v_sub_f16_e32 v14, v23, v14
	v_sub_f16_e32 v3, v13, v3
	;; [unrolled: 1-line block ×3, first 2 shown]
	v_pack_b32_f16 v17, v17, v18
	v_pack_b32_f16 v0, v0, v1
	;; [unrolled: 1-line block ×6, first 2 shown]
	ds_write2_b32 v131, v12, v8 offset0:72 offset1:108
	ds_write2_b32 v131, v7, v4 offset0:144 offset1:180
	ds_write2_b32 v136, v17, v0 offset1:36
	ds_write2_b32 v136, v1, v6 offset0:72 offset1:108
	ds_write2_b32 v136, v3, v2 offset0:144 offset1:180
	s_waitcnt lgkmcnt(0)
	s_barrier
	buffer_gl0_inv
	ds_read2_b32 v[0:1], v88 offset0:96 offset1:240
	ds_read2_b32 v[2:3], v104 offset0:64 offset1:208
	;; [unrolled: 1-line block ×3, first 2 shown]
	s_waitcnt lgkmcnt(2)
	v_lshrrev_b32_e32 v6, 16, v0
	v_mul_f16_sdwa v7, v47, v0 dst_sel:DWORD dst_unused:UNUSED_PAD src0_sel:WORD_1 src1_sel:DWORD
	s_waitcnt lgkmcnt(1)
	v_lshrrev_b32_e32 v8, 16, v2
	v_mul_f16_sdwa v9, v48, v2 dst_sel:DWORD dst_unused:UNUSED_PAD src0_sel:WORD_1 src1_sel:DWORD
	;; [unrolled: 3-line block ×3, first 2 shown]
	v_fma_f16 v12, v47, v6, -v7
	v_mul_f16_sdwa v15, v48, v8 dst_sel:DWORD dst_unused:UNUSED_PAD src0_sel:WORD_1 src1_sel:DWORD
	v_fma_f16 v14, v48, v8, -v9
	ds_read2_b32 v[6:7], v105 offset1:144
	ds_read2_b32 v[8:9], v84 offset0:96 offset1:240
	v_mul_f16_sdwa v11, v49, v4 dst_sel:DWORD dst_unused:UNUSED_PAD src0_sel:WORD_1 src1_sel:DWORD
	v_lshrrev_b32_e32 v17, 16, v1
	v_fmac_f16_e32 v13, v47, v0
	v_lshrrev_b32_e32 v0, 16, v3
	v_mul_f16_sdwa v18, v49, v10 dst_sel:DWORD dst_unused:UNUSED_PAD src0_sel:WORD_1 src1_sel:DWORD
	v_fma_f16 v16, v49, v10, -v11
	v_mul_f16_sdwa v19, v44, v17 dst_sel:DWORD dst_unused:UNUSED_PAD src0_sel:WORD_1 src1_sel:DWORD
	ds_read2_b32 v[10:11], v102 offset0:64 offset1:208
	v_fmac_f16_e32 v15, v48, v2
	v_mul_f16_sdwa v21, v45, v0 dst_sel:DWORD dst_unused:UNUSED_PAD src0_sel:WORD_1 src1_sel:DWORD
	v_mul_f16_sdwa v2, v45, v3 dst_sel:DWORD dst_unused:UNUSED_PAD src0_sel:WORD_1 src1_sel:DWORD
	v_fmac_f16_e32 v19, v44, v1
	v_mul_f16_sdwa v1, v44, v1 dst_sel:DWORD dst_unused:UNUSED_PAD src0_sel:WORD_1 src1_sel:DWORD
	v_lshrrev_b32_e32 v20, 16, v5
	v_fmac_f16_e32 v21, v45, v3
	v_fma_f16 v23, v45, v0, -v2
	v_fmac_f16_e32 v18, v49, v4
	v_fma_f16 v17, v44, v17, -v1
	s_waitcnt lgkmcnt(2)
	v_lshrrev_b32_e32 v0, 16, v6
	s_waitcnt lgkmcnt(1)
	v_lshrrev_b32_e32 v2, 16, v8
	v_mul_f16_sdwa v3, v42, v8 dst_sel:DWORD dst_unused:UNUSED_PAD src0_sel:WORD_1 src1_sel:DWORD
	v_mul_f16_sdwa v1, v41, v6 dst_sel:DWORD dst_unused:UNUSED_PAD src0_sel:WORD_1 src1_sel:DWORD
	v_lshrrev_b32_e32 v29, 16, v7
	v_mul_f16_sdwa v25, v41, v0 dst_sel:DWORD dst_unused:UNUSED_PAD src0_sel:WORD_1 src1_sel:DWORD
	v_mul_f16_sdwa v27, v42, v2 dst_sel:DWORD dst_unused:UNUSED_PAD src0_sel:WORD_1 src1_sel:DWORD
	v_fma_f16 v26, v42, v2, -v3
	ds_read2_b32 v[2:3], v103 offset1:144
	v_mul_f16_sdwa v22, v46, v20 dst_sel:DWORD dst_unused:UNUSED_PAD src0_sel:WORD_1 src1_sel:DWORD
	v_mul_f16_sdwa v4, v46, v5 dst_sel:DWORD dst_unused:UNUSED_PAD src0_sel:WORD_1 src1_sel:DWORD
	v_fma_f16 v24, v41, v0, -v1
	v_fmac_f16_e32 v25, v41, v6
	v_lshrrev_b32_e32 v31, 16, v9
	v_mul_f16_sdwa v41, v38, v29 dst_sel:DWORD dst_unused:UNUSED_PAD src0_sel:WORD_1 src1_sel:DWORD
	v_mul_f16_sdwa v6, v38, v7 dst_sel:DWORD dst_unused:UNUSED_PAD src0_sel:WORD_1 src1_sel:DWORD
	v_fmac_f16_e32 v22, v46, v5
	v_fma_f16 v20, v46, v20, -v4
	s_waitcnt lgkmcnt(1)
	v_lshrrev_b32_e32 v4, 16, v10
	v_mul_f16_sdwa v5, v43, v10 dst_sel:DWORD dst_unused:UNUSED_PAD src0_sel:WORD_1 src1_sel:DWORD
	ds_read2_b32 v[0:1], v86 offset0:32 offset1:176
	v_fmac_f16_e32 v27, v42, v8
	v_mul_f16_sdwa v8, v39, v31 dst_sel:DWORD dst_unused:UNUSED_PAD src0_sel:WORD_1 src1_sel:DWORD
	v_fmac_f16_e32 v41, v38, v7
	v_fma_f16 v29, v38, v29, -v6
	ds_read2_b32 v[6:7], v99 offset1:144
	v_fma_f16 v28, v43, v4, -v5
	v_mul_f16_sdwa v30, v43, v4 dst_sel:DWORD dst_unused:UNUSED_PAD src0_sel:WORD_1 src1_sel:DWORD
	ds_read2_b32 v[4:5], v81 offset0:96 offset1:240
	v_fmac_f16_e32 v8, v39, v9
	v_mul_f16_sdwa v9, v39, v9 dst_sel:DWORD dst_unused:UNUSED_PAD src0_sel:WORD_1 src1_sel:DWORD
	v_lshrrev_b32_e32 v44, 16, v11
	v_fmac_f16_e32 v30, v43, v10
	v_sub_f16_e32 v18, v13, v18
	v_sub_f16_e32 v16, v12, v16
	v_fma_f16 v9, v39, v31, -v9
	s_waitcnt lgkmcnt(3)
	v_lshrrev_b32_e32 v31, 16, v2
	v_mul_f16_sdwa v39, v36, v2 dst_sel:DWORD dst_unused:UNUSED_PAD src0_sel:WORD_1 src1_sel:DWORD
	v_mul_f16_sdwa v10, v40, v44 dst_sel:DWORD dst_unused:UNUSED_PAD src0_sel:WORD_1 src1_sel:DWORD
	v_fma_f16 v13, v13, 2.0, -v18
	s_waitcnt lgkmcnt(2)
	v_lshrrev_b32_e32 v38, 16, v0
	v_mul_f16_sdwa v42, v35, v0 dst_sel:DWORD dst_unused:UNUSED_PAD src0_sel:WORD_1 src1_sel:DWORD
	v_fma_f16 v39, v36, v31, -v39
	v_mul_f16_sdwa v31, v36, v31 dst_sel:DWORD dst_unused:UNUSED_PAD src0_sel:WORD_1 src1_sel:DWORD
	v_fmac_f16_e32 v10, v40, v11
	v_mul_f16_sdwa v11, v40, v11 dst_sel:DWORD dst_unused:UNUSED_PAD src0_sel:WORD_1 src1_sel:DWORD
	s_waitcnt lgkmcnt(1)
	v_sub_f16_e32 v15, v6, v15
	v_fma_f16 v12, v12, 2.0, -v16
	v_fmac_f16_e32 v31, v36, v2
	v_lshrrev_b32_e32 v2, 16, v6
	v_fma_f16 v11, v40, v44, -v11
	v_fma_f16 v40, v35, v38, -v42
	s_waitcnt lgkmcnt(0)
	v_lshrrev_b32_e32 v42, 16, v4
	v_mul_f16_sdwa v43, v37, v4 dst_sel:DWORD dst_unused:UNUSED_PAD src0_sel:WORD_1 src1_sel:DWORD
	v_mul_f16_sdwa v38, v35, v38 dst_sel:DWORD dst_unused:UNUSED_PAD src0_sel:WORD_1 src1_sel:DWORD
	v_lshrrev_b32_e32 v44, 16, v1
	v_sub_f16_e32 v14, v2, v14
	v_fma_f16 v6, v6, 2.0, -v15
	v_fma_f16 v43, v37, v42, -v43
	v_mul_f16_sdwa v42, v37, v42 dst_sel:DWORD dst_unused:UNUSED_PAD src0_sel:WORD_1 src1_sel:DWORD
	v_fmac_f16_e32 v38, v35, v0
	v_mul_f16_sdwa v35, v32, v44 dst_sel:DWORD dst_unused:UNUSED_PAD src0_sel:WORD_1 src1_sel:DWORD
	v_lshrrev_b32_e32 v0, 16, v3
	v_fma_f16 v2, v2, 2.0, -v14
	v_fmac_f16_e32 v42, v37, v4
	v_sub_f16_e32 v13, v6, v13
	v_fmac_f16_e32 v35, v32, v1
	v_mul_f16_sdwa v1, v32, v1 dst_sel:DWORD dst_unused:UNUSED_PAD src0_sel:WORD_1 src1_sel:DWORD
	v_mul_f16_sdwa v4, v33, v0 dst_sel:DWORD dst_unused:UNUSED_PAD src0_sel:WORD_1 src1_sel:DWORD
	v_sub_f16_e32 v12, v2, v12
	v_add_f16_e32 v16, v15, v16
	v_sub_f16_e32 v18, v14, v18
	v_fma_f16 v32, v32, v44, -v1
	v_fmac_f16_e32 v4, v33, v3
	v_mul_f16_sdwa v3, v33, v3 dst_sel:DWORD dst_unused:UNUSED_PAD src0_sel:WORD_1 src1_sel:DWORD
	v_fma_f16 v1, v6, 2.0, -v13
	v_fma_f16 v2, v2, 2.0, -v12
	v_sub_f16_e32 v22, v19, v22
	v_sub_f16_e32 v20, v17, v20
	v_fma_f16 v6, v33, v0, -v3
	v_fma_f16 v3, v15, 2.0, -v16
	v_pack_b32_f16 v33, v1, v2
	v_lshrrev_b32_e32 v2, 16, v7
	ds_read2_b32 v[0:1], v91 offset0:32 offset1:176
	v_sub_f16_e32 v15, v7, v21
	v_fma_f16 v14, v14, 2.0, -v18
	v_fma_f16 v19, v19, 2.0, -v22
	v_sub_f16_e32 v21, v2, v23
	v_fma_f16 v17, v17, 2.0, -v20
	v_fma_f16 v7, v7, 2.0, -v15
	v_pack_b32_f16 v14, v3, v14
	v_pack_b32_f16 v12, v13, v12
	v_fma_f16 v23, v2, 2.0, -v21
	ds_read2_b32 v[2:3], v106 offset0:64 offset1:208
	v_sub_f16_e32 v19, v7, v19
	s_waitcnt lgkmcnt(0)
	s_barrier
	v_sub_f16_e32 v17, v23, v17
	buffer_gl0_inv
	ds_write2_b32 v99, v33, v14 offset1:216
	v_fma_f16 v7, v7, 2.0, -v19
	v_add_f16_e32 v14, v15, v20
	v_fma_f16 v13, v23, 2.0, -v17
	v_sub_f16_e32 v20, v21, v22
	v_lshrrev_b32_e32 v22, 16, v0
	v_pack_b32_f16 v16, v16, v18
	v_sub_f16_e32 v23, v0, v27
	v_pack_b32_f16 v7, v7, v13
	v_fma_f16 v13, v15, 2.0, -v14
	v_fma_f16 v15, v21, 2.0, -v20
	v_sub_f16_e32 v18, v22, v26
	v_sub_f16_e32 v21, v25, v30
	v_sub_f16_e32 v26, v24, v28
	v_pack_b32_f16 v17, v19, v17
	v_pack_b32_f16 v13, v13, v15
	;; [unrolled: 1-line block ×3, first 2 shown]
	v_fma_f16 v15, v22, 2.0, -v18
	v_fma_f16 v22, v25, 2.0, -v21
	;; [unrolled: 1-line block ×4, first 2 shown]
	ds_write2_b32 v133, v12, v16 offset0:16 offset1:232
	ds_write2_b32 v132, v7, v13 offset1:216
	ds_write2_b32 v137, v17, v14 offset0:16 offset1:232
	v_lshrrev_b32_e32 v7, 16, v1
	v_sub_f16_e32 v12, v0, v22
	v_sub_f16_e32 v16, v15, v24
	;; [unrolled: 1-line block ×6, first 2 shown]
	v_fma_f16 v0, v0, 2.0, -v12
	v_fma_f16 v13, v15, 2.0, -v16
	v_add_f16_e32 v14, v23, v26
	v_sub_f16_e32 v15, v18, v21
	v_fma_f16 v1, v1, 2.0, -v8
	v_fma_f16 v7, v7, 2.0, -v9
	;; [unrolled: 1-line block ×4, first 2 shown]
	v_pack_b32_f16 v0, v0, v13
	v_fma_f16 v13, v23, 2.0, -v14
	v_fma_f16 v18, v18, 2.0, -v15
	v_sub_f16_e32 v17, v1, v17
	v_sub_f16_e32 v19, v7, v19
	v_add_f16_e32 v11, v8, v11
	v_sub_f16_e32 v10, v9, v10
	v_lshrrev_b32_e32 v36, 16, v5
	v_pack_b32_f16 v13, v13, v18
	v_fma_f16 v1, v1, 2.0, -v17
	v_fma_f16 v7, v7, 2.0, -v19
	;; [unrolled: 1-line block ×4, first 2 shown]
	v_mul_f16_sdwa v37, v34, v36 dst_sel:DWORD dst_unused:UNUSED_PAD src0_sel:WORD_1 src1_sel:DWORD
	ds_write2_b32 v134, v0, v13 offset0:8 offset1:224
	v_pack_b32_f16 v0, v12, v16
	v_pack_b32_f16 v12, v14, v15
	;; [unrolled: 1-line block ×4, first 2 shown]
	v_sub_f16_e32 v8, v2, v31
	v_lshrrev_b32_e32 v9, 16, v2
	v_fmac_f16_e32 v37, v34, v5
	v_mul_f16_sdwa v5, v34, v5 dst_sel:DWORD dst_unused:UNUSED_PAD src0_sel:WORD_1 src1_sel:DWORD
	ds_write2_b32 v135, v0, v12 offset0:24 offset1:240
	v_sub_f16_e32 v0, v38, v42
	ds_write2_b32 v143, v1, v7 offset1:216
	v_fma_f16 v1, v2, 2.0, -v8
	v_sub_f16_e32 v2, v9, v39
	v_sub_f16_e32 v7, v40, v43
	v_fma_f16 v5, v34, v36, -v5
	v_fma_f16 v12, v38, 2.0, -v0
	v_lshrrev_b32_e32 v13, 16, v3
	v_fma_f16 v9, v9, 2.0, -v2
	v_fma_f16 v14, v40, 2.0, -v7
	v_sub_f16_e32 v4, v3, v4
	v_sub_f16_e32 v12, v1, v12
	v_pack_b32_f16 v10, v11, v10
	v_sub_f16_e32 v6, v13, v6
	v_sub_f16_e32 v11, v9, v14
	;; [unrolled: 1-line block ×4, first 2 shown]
	v_fma_f16 v3, v3, 2.0, -v4
	v_pack_b32_f16 v15, v17, v19
	v_fma_f16 v1, v1, 2.0, -v12
	v_fma_f16 v9, v9, 2.0, -v11
	v_fma_f16 v13, v13, 2.0, -v6
	v_fma_f16 v16, v35, 2.0, -v14
	v_fma_f16 v17, v32, 2.0, -v5
	v_add_f16_e32 v7, v8, v7
	v_sub_f16_e32 v0, v2, v0
	v_pack_b32_f16 v1, v1, v9
	v_sub_f16_e32 v9, v3, v16
	v_sub_f16_e32 v16, v13, v17
	v_add_f16_e32 v5, v4, v5
	v_sub_f16_e32 v14, v6, v14
	v_fma_f16 v8, v8, 2.0, -v7
	v_fma_f16 v2, v2, 2.0, -v0
	;; [unrolled: 1-line block ×6, first 2 shown]
	v_pack_b32_f16 v2, v8, v2
	v_pack_b32_f16 v8, v12, v11
	;; [unrolled: 1-line block ×7, first 2 shown]
	ds_write2_b32 v138, v15, v10 offset0:16 offset1:232
	ds_write2_b32 v139, v1, v2 offset1:216
	ds_write2_b32 v140, v8, v0 offset0:16 offset1:232
	ds_write2_b32 v141, v3, v4 offset0:32 offset1:248
	;; [unrolled: 1-line block ×3, first 2 shown]
	s_waitcnt lgkmcnt(0)
	s_barrier
	buffer_gl0_inv
	ds_read2_b32 v[0:1], v88 offset0:96 offset1:240
	ds_read2_b32 v[2:3], v104 offset0:64 offset1:208
	;; [unrolled: 1-line block ×4, first 2 shown]
	s_waitcnt lgkmcnt(3)
	v_lshrrev_b32_e32 v6, 16, v0
	v_mul_f16_sdwa v7, v53, v0 dst_sel:DWORD dst_unused:UNUSED_PAD src0_sel:WORD_1 src1_sel:DWORD
	s_waitcnt lgkmcnt(2)
	v_lshrrev_b32_e32 v10, 16, v2
	s_waitcnt lgkmcnt(1)
	v_lshrrev_b32_e32 v13, 16, v4
	v_lshrrev_b32_e32 v14, 16, v1
	v_mul_f16_sdwa v12, v53, v6 dst_sel:DWORD dst_unused:UNUSED_PAD src0_sel:WORD_1 src1_sel:DWORD
	v_fma_f16 v18, v53, v6, -v7
	ds_read2_b32 v[6:7], v105 offset1:144
	v_mul_f16_sdwa v16, v54, v10 dst_sel:DWORD dst_unused:UNUSED_PAD src0_sel:WORD_1 src1_sel:DWORD
	v_mul_f16_sdwa v17, v55, v13 dst_sel:DWORD dst_unused:UNUSED_PAD src0_sel:WORD_1 src1_sel:DWORD
	v_fmac_f16_e32 v12, v53, v0
	v_mul_f16_sdwa v0, v54, v2 dst_sel:DWORD dst_unused:UNUSED_PAD src0_sel:WORD_1 src1_sel:DWORD
	v_mul_f16_sdwa v21, v50, v14 dst_sel:DWORD dst_unused:UNUSED_PAD src0_sel:WORD_1 src1_sel:DWORD
	v_lshrrev_b32_e32 v15, 16, v3
	v_mul_f16_sdwa v19, v55, v4 dst_sel:DWORD dst_unused:UNUSED_PAD src0_sel:WORD_1 src1_sel:DWORD
	v_fmac_f16_e32 v16, v54, v2
	v_fma_f16 v20, v54, v10, -v0
	ds_read2_b32 v[10:11], v102 offset0:64 offset1:208
	v_fmac_f16_e32 v17, v55, v4
	v_lshrrev_b32_e32 v0, 16, v5
	v_mul_f16_sdwa v2, v50, v1 dst_sel:DWORD dst_unused:UNUSED_PAD src0_sel:WORD_1 src1_sel:DWORD
	v_fmac_f16_e32 v21, v50, v1
	v_mul_f16_sdwa v1, v51, v3 dst_sel:DWORD dst_unused:UNUSED_PAD src0_sel:WORD_1 src1_sel:DWORD
	v_mul_f16_sdwa v4, v52, v5 dst_sel:DWORD dst_unused:UNUSED_PAD src0_sel:WORD_1 src1_sel:DWORD
	v_fma_f16 v13, v55, v13, -v19
	v_mul_f16_sdwa v19, v51, v15 dst_sel:DWORD dst_unused:UNUSED_PAD src0_sel:WORD_1 src1_sel:DWORD
	v_mul_f16_sdwa v22, v52, v0 dst_sel:DWORD dst_unused:UNUSED_PAD src0_sel:WORD_1 src1_sel:DWORD
	v_fma_f16 v15, v51, v15, -v1
	v_fma_f16 v23, v52, v0, -v4
	s_waitcnt lgkmcnt(1)
	v_lshrrev_b32_e32 v0, 16, v6
	v_mul_f16_sdwa v1, v56, v6 dst_sel:DWORD dst_unused:UNUSED_PAD src0_sel:WORD_1 src1_sel:DWORD
	v_fma_f16 v14, v50, v14, -v2
	v_fmac_f16_e32 v19, v51, v3
	v_fmac_f16_e32 v22, v52, v5
	v_mul_f16_sdwa v25, v56, v0 dst_sel:DWORD dst_unused:UNUSED_PAD src0_sel:WORD_1 src1_sel:DWORD
	v_fma_f16 v24, v56, v0, -v1
	ds_read2_b32 v[0:1], v86 offset0:32 offset1:176
	v_lshrrev_b32_e32 v2, 16, v8
	v_mul_f16_sdwa v3, v57, v8 dst_sel:DWORD dst_unused:UNUSED_PAD src0_sel:WORD_1 src1_sel:DWORD
	s_waitcnt lgkmcnt(1)
	v_lshrrev_b32_e32 v4, 16, v10
	v_mul_f16_sdwa v5, v58, v10 dst_sel:DWORD dst_unused:UNUSED_PAD src0_sel:WORD_1 src1_sel:DWORD
	v_fmac_f16_e32 v25, v56, v6
	v_lshrrev_b32_e32 v6, 16, v7
	v_fma_f16 v26, v57, v2, -v3
	v_mul_f16_sdwa v27, v57, v2 dst_sel:DWORD dst_unused:UNUSED_PAD src0_sel:WORD_1 src1_sel:DWORD
	v_fma_f16 v28, v58, v4, -v5
	v_mul_f16_sdwa v29, v58, v4 dst_sel:DWORD dst_unused:UNUSED_PAD src0_sel:WORD_1 src1_sel:DWORD
	ds_read2_b32 v[2:3], v103 offset1:144
	ds_read2_b32 v[4:5], v81 offset0:96 offset1:240
	v_mul_f16_sdwa v32, v59, v6 dst_sel:DWORD dst_unused:UNUSED_PAD src0_sel:WORD_1 src1_sel:DWORD
	v_lshrrev_b32_e32 v30, 16, v9
	v_lshrrev_b32_e32 v31, 16, v11
	v_fmac_f16_e32 v27, v57, v8
	v_fmac_f16_e32 v29, v58, v10
	;; [unrolled: 1-line block ×3, first 2 shown]
	v_mul_f16_sdwa v7, v59, v7 dst_sel:DWORD dst_unused:UNUSED_PAD src0_sel:WORD_1 src1_sel:DWORD
	v_mul_f16_sdwa v8, v60, v30 dst_sel:DWORD dst_unused:UNUSED_PAD src0_sel:WORD_1 src1_sel:DWORD
	;; [unrolled: 1-line block ×3, first 2 shown]
	s_waitcnt lgkmcnt(2)
	v_lshrrev_b32_e32 v38, 16, v1
	v_sub_f16_e32 v13, v18, v13
	v_fma_f16 v33, v59, v6, -v7
	v_lshrrev_b32_e32 v6, 16, v0
	v_mul_f16_sdwa v7, v62, v0 dst_sel:DWORD dst_unused:UNUSED_PAD src0_sel:WORD_1 src1_sel:DWORD
	v_fmac_f16_e32 v8, v60, v9
	v_mul_f16_sdwa v9, v60, v9 dst_sel:DWORD dst_unused:UNUSED_PAD src0_sel:WORD_1 src1_sel:DWORD
	v_fmac_f16_e32 v10, v61, v11
	v_mul_f16_sdwa v11, v61, v11 dst_sel:DWORD dst_unused:UNUSED_PAD src0_sel:WORD_1 src1_sel:DWORD
	v_fma_f16 v34, v62, v6, -v7
	v_mul_f16_sdwa v37, v62, v6 dst_sel:DWORD dst_unused:UNUSED_PAD src0_sel:WORD_1 src1_sel:DWORD
	ds_read2_b32 v[6:7], v99 offset1:144
	v_fma_f16 v9, v60, v30, -v9
	v_fma_f16 v11, v61, v31, -v11
	s_waitcnt lgkmcnt(2)
	v_lshrrev_b32_e32 v30, 16, v2
	v_mul_f16_sdwa v31, v63, v2 dst_sel:DWORD dst_unused:UNUSED_PAD src0_sel:WORD_1 src1_sel:DWORD
	s_waitcnt lgkmcnt(1)
	v_lshrrev_b32_e32 v35, 16, v4
	v_mul_f16_sdwa v36, v64, v4 dst_sel:DWORD dst_unused:UNUSED_PAD src0_sel:WORD_1 src1_sel:DWORD
	v_fmac_f16_e32 v37, v62, v0
	v_lshrrev_b32_e32 v0, 16, v3
	v_fma_f16 v31, v63, v30, -v31
	v_mul_f16_sdwa v30, v63, v30 dst_sel:DWORD dst_unused:UNUSED_PAD src0_sel:WORD_1 src1_sel:DWORD
	v_fma_f16 v36, v64, v35, -v36
	v_mul_f16_sdwa v35, v64, v35 dst_sel:DWORD dst_unused:UNUSED_PAD src0_sel:WORD_1 src1_sel:DWORD
	v_lshrrev_b32_e32 v39, 16, v5
	v_mul_f16_sdwa v40, v65, v38 dst_sel:DWORD dst_unused:UNUSED_PAD src0_sel:WORD_1 src1_sel:DWORD
	v_fmac_f16_e32 v30, v63, v2
	v_mul_f16_sdwa v2, v66, v3 dst_sel:DWORD dst_unused:UNUSED_PAD src0_sel:WORD_1 src1_sel:DWORD
	v_fmac_f16_e32 v35, v64, v4
	v_mul_f16_sdwa v4, v66, v0 dst_sel:DWORD dst_unused:UNUSED_PAD src0_sel:WORD_1 src1_sel:DWORD
	v_mul_f16_sdwa v41, v67, v39 dst_sel:DWORD dst_unused:UNUSED_PAD src0_sel:WORD_1 src1_sel:DWORD
	v_fmac_f16_e32 v40, v65, v1
	v_mul_f16_sdwa v1, v65, v1 dst_sel:DWORD dst_unused:UNUSED_PAD src0_sel:WORD_1 src1_sel:DWORD
	v_sub_f16_e32 v22, v21, v22
	v_fmac_f16_e32 v4, v66, v3
	v_fmac_f16_e32 v41, v67, v5
	v_mul_f16_sdwa v3, v67, v5 dst_sel:DWORD dst_unused:UNUSED_PAD src0_sel:WORD_1 src1_sel:DWORD
	v_fma_f16 v5, v65, v38, -v1
	v_fma_f16 v38, v66, v0, -v2
	s_waitcnt lgkmcnt(0)
	v_lshrrev_b32_e32 v0, 16, v6
	v_sub_f16_e32 v1, v12, v17
	v_sub_f16_e32 v17, v7, v19
	v_lshrrev_b32_e32 v19, 16, v7
	v_sub_f16_e32 v2, v6, v16
	v_fma_f16 v16, v67, v39, -v3
	v_sub_f16_e32 v3, v0, v20
	v_sub_f16_e32 v23, v14, v23
	;; [unrolled: 1-line block ×3, first 2 shown]
	v_fma_f16 v6, v6, 2.0, -v2
	v_fma_f16 v12, v12, 2.0, -v1
	;; [unrolled: 1-line block ×5, first 2 shown]
	v_sub_f16_e32 v39, v3, v1
	v_fma_f16 v19, v19, 2.0, -v15
	v_fma_f16 v21, v21, 2.0, -v22
	ds_read2_b32 v[0:1], v91 offset0:32 offset1:176
	v_fma_f16 v14, v14, 2.0, -v23
	v_sub_f16_e32 v12, v6, v12
	v_add_f16_e32 v13, v2, v13
	v_sub_f16_e32 v18, v20, v18
	v_sub_f16_e32 v21, v7, v21
	;; [unrolled: 1-line block ×3, first 2 shown]
	v_fma_f16 v43, v3, 2.0, -v39
	v_fma_f16 v42, v2, 2.0, -v13
	ds_read2_b32 v[2:3], v106 offset0:64 offset1:208
	v_fma_f16 v6, v6, 2.0, -v12
	v_fma_f16 v20, v20, 2.0, -v18
	v_fma_f16 v7, v7, 2.0, -v21
	v_fma_f16 v19, v19, 2.0, -v14
	v_pack_b32_f16 v42, v42, v43
	v_pack_b32_f16 v12, v12, v18
	;; [unrolled: 1-line block ×5, first 2 shown]
	ds_write_b32 v99, v42 offset:3456
	ds_write_b32 v99, v12 offset:6912
	;; [unrolled: 1-line block ×3, first 2 shown]
	s_waitcnt lgkmcnt(4)
	v_sub_f16_e32 v12, v0, v27
	v_add_f16_e32 v20, v17, v23
	ds_write2_b32 v99, v6, v7 offset1:144
	v_lshrrev_b32_e32 v6, 16, v0
	v_sub_f16_e32 v22, v15, v22
	v_sub_f16_e32 v23, v25, v29
	v_lshrrev_b32_e32 v7, 16, v1
	v_fma_f16 v0, v0, 2.0, -v12
	v_sub_f16_e32 v26, v6, v26
	s_waitcnt lgkmcnt(4)
	v_lshrrev_b32_e32 v18, 16, v2
	v_fma_f16 v17, v17, 2.0, -v20
	v_fma_f16 v15, v15, 2.0, -v22
	v_sub_f16_e32 v27, v24, v28
	v_fma_f16 v25, v25, 2.0, -v23
	v_pack_b32_f16 v14, v21, v14
	v_sub_f16_e32 v23, v26, v23
	v_sub_f16_e32 v8, v1, v8
	v_lshrrev_b32_e32 v19, 16, v3
	v_sub_f16_e32 v10, v32, v10
	v_sub_f16_e32 v9, v7, v9
	;; [unrolled: 1-line block ×4, first 2 shown]
	v_pack_b32_f16 v15, v17, v15
	v_fma_f16 v6, v6, 2.0, -v26
	v_fma_f16 v17, v24, 2.0, -v27
	v_sub_f16_e32 v21, v0, v25
	ds_write_b32 v99, v14 offset:7488
	v_pack_b32_f16 v14, v20, v22
	v_add_f16_e32 v22, v12, v27
	v_fma_f16 v25, v26, 2.0, -v23
	v_sub_f16_e32 v26, v18, v31
	v_sub_f16_e32 v27, v37, v35
	;; [unrolled: 1-line block ×3, first 2 shown]
	v_fma_f16 v1, v1, 2.0, -v8
	v_sub_f16_e32 v4, v3, v4
	v_fma_f16 v20, v32, 2.0, -v10
	v_fma_f16 v7, v7, 2.0, -v9
	;; [unrolled: 1-line block ×3, first 2 shown]
	v_sub_f16_e32 v31, v19, v38
	v_sub_f16_e32 v32, v40, v41
	;; [unrolled: 1-line block ×3, first 2 shown]
	v_fma_f16 v2, v2, 2.0, -v13
	v_sub_f16_e32 v17, v6, v17
	v_fma_f16 v18, v18, 2.0, -v26
	v_fma_f16 v29, v37, 2.0, -v27
	;; [unrolled: 1-line block ×4, first 2 shown]
	v_sub_f16_e32 v20, v1, v20
	v_sub_f16_e32 v24, v7, v24
	v_fma_f16 v19, v19, 2.0, -v31
	v_fma_f16 v33, v40, 2.0, -v32
	;; [unrolled: 1-line block ×6, first 2 shown]
	v_add_f16_e32 v11, v8, v11
	v_sub_f16_e32 v10, v9, v10
	v_sub_f16_e32 v29, v2, v29
	;; [unrolled: 1-line block ×3, first 2 shown]
	v_add_f16_e32 v28, v13, v28
	v_sub_f16_e32 v27, v26, v27
	v_fma_f16 v1, v1, 2.0, -v20
	v_fma_f16 v7, v7, 2.0, -v24
	v_sub_f16_e32 v33, v3, v33
	v_sub_f16_e32 v5, v19, v5
	v_add_f16_e32 v16, v4, v16
	v_sub_f16_e32 v32, v31, v32
	v_fma_f16 v8, v8, 2.0, -v11
	v_fma_f16 v9, v9, 2.0, -v10
	v_fma_f16 v2, v2, 2.0, -v29
	v_fma_f16 v18, v18, 2.0, -v30
	v_fma_f16 v13, v13, 2.0, -v28
	v_fma_f16 v26, v26, 2.0, -v27
	v_pack_b32_f16 v0, v0, v6
	v_pack_b32_f16 v6, v12, v25
	v_fma_f16 v3, v3, 2.0, -v33
	v_fma_f16 v19, v19, 2.0, -v5
	v_pack_b32_f16 v1, v1, v7
	v_fma_f16 v4, v4, 2.0, -v16
	v_fma_f16 v31, v31, 2.0, -v32
	ds_write_b32 v99, v14 offset:10944
	v_pack_b32_f16 v12, v21, v17
	v_pack_b32_f16 v14, v20, v24
	v_pack_b32_f16 v7, v22, v23
	v_pack_b32_f16 v10, v11, v10
	ds_write2_b32 v144, v15, v6 offset0:48 offset1:192
	ds_write2_b32 v91, v0, v1 offset0:32 offset1:176
	v_pack_b32_f16 v0, v8, v9
	v_pack_b32_f16 v1, v2, v18
	;; [unrolled: 1-line block ×7, first 2 shown]
	ds_write2_b32 v84, v12, v14 offset0:96 offset1:240
	ds_write2_b32 v102, v7, v10 offset0:64 offset1:208
	v_pack_b32_f16 v7, v28, v27
	v_pack_b32_f16 v8, v16, v32
	ds_write2_b32 v107, v0, v2 offset0:16 offset1:160
	ds_write2_b32 v106, v1, v3 offset0:64 offset1:208
	ds_write_b32 v99, v4 offset:6336
	ds_write2_b32 v103, v6, v5 offset1:144
	ds_write2_b32 v81, v7, v8 offset0:96 offset1:240
	s_waitcnt lgkmcnt(0)
	s_barrier
	buffer_gl0_inv
	ds_read2_b32 v[6:7], v99 offset1:144
	s_waitcnt lgkmcnt(0)
	v_lshrrev_b32_e32 v2, 16, v6
	v_mul_f16_sdwa v3, v101, v6 dst_sel:DWORD dst_unused:UNUSED_PAD src0_sel:WORD_1 src1_sel:DWORD
	v_mul_f16_sdwa v0, v101, v2 dst_sel:DWORD dst_unused:UNUSED_PAD src0_sel:WORD_1 src1_sel:DWORD
	v_fma_f16 v2, v101, v2, -v3
	v_fmac_f16_e32 v0, v101, v6
	v_cvt_f32_f16_e32 v2, v2
	v_cvt_f32_f16_e32 v0, v0
	v_cvt_f64_f32_e32 v[4:5], v2
	ds_read2_b32 v[2:3], v106 offset0:64 offset1:208
	v_cvt_f64_f32_e32 v[0:1], v0
	s_waitcnt lgkmcnt(0)
	v_lshrrev_b32_e32 v6, 16, v2
	v_mul_f64 v[4:5], v[4:5], s[2:3]
	v_mul_f64 v[8:9], v[0:1], s[2:3]
	v_mul_f16_sdwa v1, v100, v6 dst_sel:DWORD dst_unused:UNUSED_PAD src0_sel:WORD_1 src1_sel:DWORD
	v_fmac_f16_e32 v1, v100, v2
	v_cvt_f32_f16_e32 v1, v1
	v_and_or_b32 v4, 0x1ff, v5, v4
	v_lshrrev_b32_e32 v13, 8, v5
	v_bfe_u32 v15, v5, 20, 11
	v_and_or_b32 v0, 0x1ff, v9, v8
	v_lshrrev_b32_e32 v8, 8, v9
	v_bfe_u32 v10, v9, 20, 11
	v_lshrrev_b32_e32 v26, 16, v9
	v_cmp_ne_u32_e32 vcc_lo, 0, v0
	v_add_nc_u32_e32 v18, 0xfffffc10, v10
	v_cndmask_b32_e64 v0, 0, 1, vcc_lo
	v_cmp_ne_u32_e32 vcc_lo, 0, v4
	v_and_or_b32 v8, 0xffe, v8, v0
	v_sub_nc_u32_e32 v0, 0x3f1, v10
	v_cndmask_b32_e64 v4, 0, 1, vcc_lo
	v_or_b32_e32 v11, 0x1000, v8
	v_med3_i32 v12, v0, 0, 13
	v_cvt_f64_f32_e32 v[0:1], v1
	v_and_or_b32 v4, 0xffe, v13, v4
	v_sub_nc_u32_e32 v13, 0x3f1, v15
	v_lshl_or_b32 v19, v18, 12, v8
	v_lshrrev_b32_e32 v14, v12, v11
	v_or_b32_e32 v16, 0x1000, v4
	v_med3_i32 v17, v13, 0, 13
	v_lshlrev_b32_e32 v12, v12, v14
	v_lshrrev_b32_e32 v20, v17, v16
	v_cmp_ne_u32_e32 vcc_lo, v12, v11
	v_mad_u64_u32 v[10:11], null, s10, v68, 0
	v_cndmask_b32_e64 v12, 0, 1, vcc_lo
	v_cmp_gt_i32_e32 vcc_lo, 1, v18
	v_or_b32_e32 v14, v14, v12
	v_mul_f64 v[12:13], v[0:1], s[2:3]
	v_mul_f16_sdwa v1, v100, v2 dst_sel:DWORD dst_unused:UNUSED_PAD src0_sel:WORD_1 src1_sel:DWORD
	v_mov_b32_e32 v0, v11
	v_cndmask_b32_e32 v2, v19, v14, vcc_lo
	v_lshlrev_b32_e32 v14, v17, v20
	v_fma_f16 v1, v100, v6, -v1
	v_add_nc_u32_e32 v19, 0xfffffc10, v15
	v_and_b32_e32 v6, 7, v2
	v_cmp_ne_u32_e32 vcc_lo, v14, v16
	v_cvt_f32_f16_e32 v14, v1
	v_mad_u64_u32 v[0:1], null, s11, v68, v[0:1]
	v_cmp_gt_i32_e64 s0, 1, v19
	v_cndmask_b32_e64 v11, 0, 1, vcc_lo
	v_cvt_f64_f32_e32 v[14:15], v14
	v_cmp_lt_i32_e32 vcc_lo, 5, v6
	v_or_b32_e32 v1, v20, v11
	v_lshl_or_b32 v11, v19, 12, v4
	v_cndmask_b32_e64 v16, v11, v1, s0
	v_and_or_b32 v1, 0x1ff, v13, v12
	v_cmp_eq_u32_e64 s0, 3, v6
	v_mov_b32_e32 v11, v0
	v_lshrrev_b32_e32 v0, 2, v2
	v_and_b32_e32 v6, 7, v16
	v_cmp_ne_u32_e64 s1, 0, v1
	s_or_b32 vcc_lo, s0, vcc_lo
	v_lshrrev_b32_e32 v2, 8, v13
	v_add_co_ci_u32_e32 v0, vcc_lo, 0, v0, vcc_lo
	v_cndmask_b32_e64 v1, 0, 1, s1
	v_cmp_lt_i32_e32 vcc_lo, 5, v6
	v_cmp_eq_u32_e64 s0, 3, v6
	v_lshrrev_b32_e32 v6, 2, v16
	v_bfe_u32 v12, v13, 20, 11
	v_and_or_b32 v20, 0xffe, v2, v1
	ds_read2_b32 v[1:2], v105 offset1:144
	s_or_b32 vcc_lo, s0, vcc_lo
	v_mul_f64 v[14:15], v[14:15], s[2:3]
	v_add_co_ci_u32_e32 v6, vcc_lo, 0, v6, vcc_lo
	v_sub_nc_u32_e32 v17, 0x3f1, v12
	v_cmp_gt_i32_e32 vcc_lo, 31, v18
	v_or_b32_e32 v21, 0x1000, v20
	v_cmp_ne_u32_e64 s1, 0, v8
	v_add_nc_u32_e32 v12, 0xfffffc10, v12
	v_med3_i32 v16, v17, 0, 13
	v_cndmask_b32_e32 v0, 0x7c00, v0, vcc_lo
	v_cmp_ne_u32_e32 vcc_lo, 0, v4
	v_cndmask_b32_e64 v8, 0, 1, s1
	v_lshrrev_b32_e32 v22, v16, v21
	v_cndmask_b32_e64 v4, 0, 1, vcc_lo
	v_cmp_gt_i32_e32 vcc_lo, 31, v19
	v_lshl_or_b32 v8, v8, 9, 0x7c00
	v_lshlrev_b32_e32 v23, v16, v22
	s_waitcnt lgkmcnt(0)
	v_lshrrev_b32_e32 v24, 16, v1
	v_lshl_or_b32 v4, v4, 9, 0x7c00
	v_cndmask_b32_e32 v6, 0x7c00, v6, vcc_lo
	v_cmp_eq_u32_e32 vcc_lo, 0x40f, v18
	v_and_or_b32 v14, 0x1ff, v15, v14
	v_mul_f16_sdwa v25, v98, v24 dst_sel:DWORD dst_unused:UNUSED_PAD src0_sel:WORD_1 src1_sel:DWORD
	v_lshrrev_b32_e32 v9, 8, v15
	v_mad_u64_u32 v[16:17], null, s8, v96, 0
	v_cndmask_b32_e32 v18, v0, v8, vcc_lo
	v_cmp_ne_u32_e32 vcc_lo, v23, v21
	v_fmac_f16_e32 v25, v98, v1
	v_bfe_u32 v21, v15, 20, 11
	v_lshrrev_b32_e32 v15, 16, v15
	v_cndmask_b32_e64 v0, 0, 1, vcc_lo
	v_cmp_ne_u32_e32 vcc_lo, 0, v14
	v_cvt_f32_f16_e32 v14, v25
	v_or_b32_e32 v0, v22, v0
	v_cndmask_b32_e64 v8, 0, 1, vcc_lo
	v_cmp_eq_u32_e32 vcc_lo, 0x40f, v19
	v_lshl_or_b32 v22, v12, 12, v20
	v_and_or_b32 v23, 0xffe, v9, v8
	v_cvt_f64_f32_e32 v[8:9], v14
	v_cndmask_b32_e32 v6, v6, v4, vcc_lo
	v_cmp_gt_i32_e32 vcc_lo, 1, v12
	v_sub_nc_u32_e32 v14, 0x3f1, v21
	v_add_nc_u32_e32 v21, 0xfffffc10, v21
	v_cndmask_b32_e32 v19, v22, v0, vcc_lo
	v_mov_b32_e32 v0, v17
	v_or_b32_e32 v17, 0x1000, v23
	v_med3_i32 v14, v14, 0, 13
	v_lshrrev_b32_e32 v22, 16, v5
	v_and_b32_e32 v25, 7, v19
	v_mad_u64_u32 v[4:5], null, s9, v96, v[0:1]
	v_lshrrev_b32_e32 v0, v14, v17
	v_and_or_b32 v5, 0x8000, v26, v18
	v_cmp_lt_i32_e32 vcc_lo, 5, v25
	v_cmp_eq_u32_e64 s0, 3, v25
	v_and_or_b32 v22, 0x8000, v22, v6
	v_lshlrev_b32_e32 v6, v14, v0
	v_and_b32_e32 v14, 0xffff, v5
	v_lshrrev_b32_e32 v5, 2, v19
	v_mul_f16_sdwa v1, v98, v1 dst_sel:DWORD dst_unused:UNUSED_PAD src0_sel:WORD_1 src1_sel:DWORD
	s_or_b32 vcc_lo, s0, vcc_lo
	v_mul_f64 v[18:19], v[8:9], s[2:3]
	v_lshl_or_b32 v22, v22, 16, v14
	v_add_co_ci_u32_e32 v8, vcc_lo, 0, v5, vcc_lo
	v_fma_f16 v1, v98, v24, -v1
	v_cmp_ne_u32_e32 vcc_lo, v6, v17
	v_mov_b32_e32 v17, v4
	v_cvt_f32_f16_e32 v1, v1
	v_cndmask_b32_e64 v5, 0, 1, vcc_lo
	v_cmp_ne_u32_e32 vcc_lo, 0, v20
	v_lshl_or_b32 v20, v21, 12, v23
	v_or_b32_e32 v0, v0, v5
	v_cndmask_b32_e64 v9, 0, 1, vcc_lo
	v_cvt_f64_f32_e32 v[5:6], v1
	v_cmp_gt_i32_e32 vcc_lo, 31, v12
	v_and_or_b32 v18, 0x1ff, v19, v18
	v_cndmask_b32_e32 v1, 0x7c00, v8, vcc_lo
	v_cmp_gt_i32_e32 vcc_lo, 1, v21
	v_lshl_or_b32 v8, v9, 9, 0x7c00
	v_lshlrev_b64 v[9:10], 2, v[10:11]
	v_cmp_ne_u32_e64 s1, 0, v18
	v_lshrrev_b32_e32 v29, 16, v19
	v_cndmask_b32_e32 v4, v20, v0, vcc_lo
	v_cmp_eq_u32_e32 vcc_lo, 0x40f, v12
	v_lshrrev_b32_e32 v20, 16, v13
	v_and_b32_e32 v12, 7, v4
	v_cndmask_b32_e32 v14, v1, v8, vcc_lo
	ds_read2_b32 v[0:1], v104 offset0:64 offset1:208
	v_add_co_u32 v9, vcc_lo, s4, v9
	v_add_co_ci_u32_e32 v8, vcc_lo, s5, v10, vcc_lo
	v_cmp_lt_i32_e32 vcc_lo, 5, v12
	v_cmp_eq_u32_e64 s0, 3, v12
	v_mul_f64 v[12:13], v[5:6], s[2:3]
	v_lshrrev_b32_e32 v4, 2, v4
	v_lshlrev_b64 v[10:11], 2, v[16:17]
	v_cndmask_b32_e64 v5, 0, 1, s1
	s_or_b32 vcc_lo, s0, vcc_lo
	v_lshrrev_b32_e32 v6, 8, v19
	v_bfe_u32 v16, v19, 20, 11
	v_add_co_ci_u32_e32 v4, vcc_lo, 0, v4, vcc_lo
	v_cmp_ne_u32_e32 vcc_lo, 0, v23
	v_and_or_b32 v18, 0xffe, v6, v5
	v_sub_nc_u32_e32 v5, 0x3f1, v16
	v_and_or_b32 v14, 0x8000, v20, v14
	s_waitcnt lgkmcnt(0)
	v_lshrrev_b32_e32 v17, 16, v0
	v_cndmask_b32_e64 v6, 0, 1, vcc_lo
	v_cmp_gt_i32_e32 vcc_lo, 31, v21
	v_or_b32_e32 v24, 0x1000, v18
	v_med3_i32 v5, v5, 0, 13
	v_mul_f16_sdwa v23, v97, v17 dst_sel:DWORD dst_unused:UNUSED_PAD src0_sel:WORD_1 src1_sel:DWORD
	v_lshl_or_b32 v6, v6, 9, 0x7c00
	v_cndmask_b32_e32 v4, 0x7c00, v4, vcc_lo
	v_cmp_eq_u32_e32 vcc_lo, 0x40f, v21
	v_and_or_b32 v12, 0x1ff, v13, v12
	v_fmac_f16_e32 v23, v97, v0
	v_lshrrev_b32_e32 v20, v5, v24
	v_bfe_u32 v25, v13, 20, 11
	v_cndmask_b32_e32 v6, v4, v6, vcc_lo
	v_cmp_ne_u32_e32 vcc_lo, 0, v12
	v_cvt_f32_f16_e32 v23, v23
	v_lshlrev_b32_e32 v21, v5, v20
	v_mul_f16_sdwa v0, v97, v0 dst_sel:DWORD dst_unused:UNUSED_PAD src0_sel:WORD_1 src1_sel:DWORD
	v_and_or_b32 v6, 0x8000, v15, v6
	v_cndmask_b32_e64 v12, 0, 1, vcc_lo
	v_add_co_u32 v10, vcc_lo, v9, v10
	v_cvt_f64_f32_e32 v[4:5], v23
	v_add_co_ci_u32_e32 v11, vcc_lo, v8, v11, vcc_lo
	v_cmp_ne_u32_e32 vcc_lo, v21, v24
	v_lshrrev_b32_e32 v23, 8, v13
	v_add_nc_u32_e32 v24, 0xfffffc10, v16
	v_sub_nc_u32_e32 v16, 0x3f1, v25
	s_mul_i32 s0, s9, 0x900
	v_cndmask_b32_e64 v21, 0, 1, vcc_lo
	v_and_or_b32 v12, 0xffe, v23, v12
	v_cmp_gt_i32_e32 vcc_lo, 1, v24
	v_med3_i32 v16, v16, 0, 13
	v_and_b32_e32 v23, 0xffff, v14
	v_or_b32_e32 v15, v20, v21
	v_lshl_or_b32 v20, v24, 12, v18
	v_or_b32_e32 v21, 0x1000, v12
	s_mul_hi_u32 s4, s8, 0x900
	v_fma_f16 v0, v97, v17, -v0
	s_add_i32 s4, s4, s0
	v_cndmask_b32_e32 v20, v20, v15, vcc_lo
	v_lshrrev_b32_e32 v26, v16, v21
	s_mul_i32 s5, s8, 0x900
	v_mul_f64 v[14:15], v[4:5], s[2:3]
	v_lshl_or_b32 v4, v6, 16, v23
	v_and_b32_e32 v5, 7, v20
	v_lshlrev_b32_e32 v6, v16, v26
	v_cvt_f32_f16_e32 v0, v0
	v_add_nc_u32_e32 v23, 0xfffffc10, v25
	v_lshrrev_b32_e32 v13, 16, v13
	v_cmp_lt_i32_e32 vcc_lo, 5, v5
	v_cmp_eq_u32_e64 s0, 3, v5
	v_lshrrev_b32_e32 v5, 2, v20
	v_cmp_ne_u32_e64 s1, v6, v21
	v_cvt_f64_f32_e32 v[16:17], v0
	v_lshl_or_b32 v21, v23, 12, v12
	s_or_b32 vcc_lo, s0, vcc_lo
	global_store_dword v[10:11], v22, off
	v_add_co_ci_u32_e32 v20, vcc_lo, 0, v5, vcc_lo
	v_cndmask_b32_e64 v0, 0, 1, s1
	v_cmp_ne_u32_e32 vcc_lo, 0, v18
	ds_read2_b32 v[5:6], v103 offset1:144
	v_or_b32_e32 v0, v26, v0
	v_cndmask_b32_e64 v18, 0, 1, vcc_lo
	v_cmp_gt_i32_e32 vcc_lo, 1, v23
	v_and_or_b32 v14, 0x1ff, v15, v14
	v_lshrrev_b32_e32 v27, 8, v15
	v_bfe_u32 v28, v15, 20, 11
	v_lshl_or_b32 v18, v18, 9, 0x7c00
	v_cndmask_b32_e32 v0, v21, v0, vcc_lo
	v_cmp_gt_i32_e32 vcc_lo, 31, v24
	v_mul_f64 v[16:17], v[16:17], s[2:3]
	v_and_b32_e32 v26, 7, v0
	v_cndmask_b32_e32 v25, 0x7c00, v20, vcc_lo
	v_cmp_ne_u32_e32 vcc_lo, 0, v14
	v_lshrrev_b32_e32 v0, 2, v0
	v_cmp_eq_u32_e64 s0, 3, v26
	v_cndmask_b32_e64 v14, 0, 1, vcc_lo
	v_add_co_u32 v20, vcc_lo, v10, s5
	v_add_co_ci_u32_e32 v21, vcc_lo, s4, v11, vcc_lo
	v_cmp_eq_u32_e32 vcc_lo, 0x40f, v24
	v_and_or_b32 v14, 0xffe, v27, v14
	global_store_dword v[20:21], v4, off
	v_cndmask_b32_e32 v24, v25, v18, vcc_lo
	v_cmp_lt_i32_e32 vcc_lo, 5, v26
	s_waitcnt lgkmcnt(0)
	v_lshrrev_b32_e32 v25, 16, v5
	v_sub_nc_u32_e32 v18, 0x3f1, v28
	v_or_b32_e32 v26, 0x1000, v14
	v_and_or_b32 v16, 0x1ff, v17, v16
	s_or_b32 vcc_lo, s0, vcc_lo
	v_mul_f16_sdwa v27, v95, v25 dst_sel:DWORD dst_unused:UNUSED_PAD src0_sel:WORD_1 src1_sel:DWORD
	v_add_co_ci_u32_e32 v0, vcc_lo, 0, v0, vcc_lo
	v_cmp_ne_u32_e32 vcc_lo, 0, v12
	v_med3_i32 v18, v18, 0, 13
	v_fmac_f16_e32 v27, v95, v5
	v_and_or_b32 v24, 0x8000, v29, v24
	v_mul_f16_sdwa v5, v95, v5 dst_sel:DWORD dst_unused:UNUSED_PAD src0_sel:WORD_1 src1_sel:DWORD
	v_cndmask_b32_e64 v12, 0, 1, vcc_lo
	v_cmp_gt_i32_e32 vcc_lo, 31, v23
	v_lshrrev_b32_e32 v30, v18, v26
	v_cvt_f32_f16_e32 v19, v27
	v_fma_f16 v5, v95, v25, -v5
	v_lshl_or_b32 v12, v12, 9, 0x7c00
	v_cndmask_b32_e32 v0, 0x7c00, v0, vcc_lo
	v_cmp_eq_u32_e32 vcc_lo, 0x40f, v23
	v_lshlrev_b32_e32 v27, v18, v30
	v_cvt_f64_f32_e32 v[18:19], v19
	v_bfe_u32 v23, v17, 20, 11
	v_cvt_f32_f16_e32 v5, v5
	v_cndmask_b32_e32 v0, v0, v12, vcc_lo
	v_cmp_ne_u32_e32 vcc_lo, 0, v16
	v_lshrrev_b32_e32 v16, 8, v17
	v_lshrrev_b32_e32 v17, 16, v17
	v_and_or_b32 v0, 0x8000, v13, v0
	v_cndmask_b32_e64 v12, 0, 1, vcc_lo
	v_cmp_ne_u32_e32 vcc_lo, v27, v26
	v_add_nc_u32_e32 v27, 0xfffffc10, v28
	v_and_b32_e32 v13, 0xffff, v24
	v_and_or_b32 v16, 0xffe, v16, v12
	v_cndmask_b32_e64 v26, 0, 1, vcc_lo
	v_sub_nc_u32_e32 v12, 0x3f1, v23
	v_lshl_or_b32 v28, v27, 12, v14
	v_cmp_gt_i32_e32 vcc_lo, 1, v27
	v_or_b32_e32 v29, 0x1000, v16
	v_or_b32_e32 v26, v30, v26
	v_med3_i32 v12, v12, 0, 13
	v_mul_f64 v[10:11], v[18:19], s[2:3]
	v_lshl_or_b32 v0, v0, 16, v13
	v_cndmask_b32_e32 v24, v28, v26, vcc_lo
	v_lshrrev_b32_e32 v22, v12, v29
	v_and_b32_e32 v4, 7, v24
	v_lshlrev_b32_e32 v18, v12, v22
	v_add_co_u32 v12, vcc_lo, v20, s5
	v_add_co_ci_u32_e32 v13, vcc_lo, s4, v21, vcc_lo
	v_cmp_lt_i32_e32 vcc_lo, 5, v4
	v_cmp_eq_u32_e64 s0, 3, v4
	v_lshrrev_b32_e32 v4, 2, v24
	v_cmp_ne_u32_e64 s1, v18, v29
	v_add_nc_u32_e32 v21, 0xfffffc10, v23
	v_cvt_f64_f32_e32 v[18:19], v5
	s_or_b32 vcc_lo, s0, vcc_lo
	global_store_dword v[12:13], v0, off
	v_add_co_ci_u32_e32 v23, vcc_lo, 0, v4, vcc_lo
	v_cndmask_b32_e64 v20, 0, 1, s1
	v_cmp_ne_u32_e32 vcc_lo, 0, v14
	v_and_or_b32 v10, 0x1ff, v11, v10
	ds_read2_b32 v[4:5], v102 offset0:64 offset1:208
	v_bfe_u32 v24, v11, 20, 11
	v_or_b32_e32 v20, v22, v20
	v_lshl_or_b32 v22, v21, 12, v16
	v_cndmask_b32_e64 v14, 0, 1, vcc_lo
	v_cmp_gt_i32_e32 vcc_lo, 1, v21
	v_lshl_or_b32 v14, v14, 9, 0x7c00
	v_cndmask_b32_e32 v20, v22, v20, vcc_lo
	v_cmp_ne_u32_e32 vcc_lo, 0, v10
	v_lshrrev_b32_e32 v22, 8, v11
	v_mul_f64 v[18:19], v[18:19], s[2:3]
	v_and_b32_e32 v25, 7, v20
	v_cndmask_b32_e64 v10, 0, 1, vcc_lo
	v_cmp_gt_i32_e32 vcc_lo, 31, v27
	v_lshrrev_b32_e32 v20, 2, v20
	v_cmp_eq_u32_e64 s0, 3, v25
	v_and_or_b32 v10, 0xffe, v22, v10
	v_cndmask_b32_e32 v23, 0x7c00, v23, vcc_lo
	v_cmp_lt_i32_e32 vcc_lo, 5, v25
	v_sub_nc_u32_e32 v22, 0x3f1, v24
	s_waitcnt lgkmcnt(0)
	v_lshrrev_b32_e32 v26, 16, v4
	v_or_b32_e32 v25, 0x1000, v10
	v_add_nc_u32_e32 v24, 0xfffffc10, v24
	s_or_b32 vcc_lo, s0, vcc_lo
	v_med3_i32 v22, v22, 0, 13
	v_add_co_ci_u32_e32 v20, vcc_lo, 0, v20, vcc_lo
	v_cmp_ne_u32_e32 vcc_lo, 0, v16
	v_mul_f16_sdwa v28, v94, v26 dst_sel:DWORD dst_unused:UNUSED_PAD src0_sel:WORD_1 src1_sel:DWORD
	v_lshrrev_b32_e32 v29, v22, v25
	v_and_or_b32 v18, 0x1ff, v19, v18
	v_cndmask_b32_e64 v16, 0, 1, vcc_lo
	v_cmp_eq_u32_e32 vcc_lo, 0x40f, v27
	v_lshlrev_b32_e32 v22, v22, v29
	v_fmac_f16_e32 v28, v94, v4
	v_lshrrev_b32_e32 v27, 16, v15
	v_lshl_or_b32 v16, v16, 9, 0x7c00
	v_cndmask_b32_e32 v23, v23, v14, vcc_lo
	v_cmp_gt_i32_e32 vcc_lo, 31, v21
	v_cvt_f32_f16_e32 v14, v28
	v_mul_f16_sdwa v4, v94, v4 dst_sel:DWORD dst_unused:UNUSED_PAD src0_sel:WORD_1 src1_sel:DWORD
	v_lshrrev_b32_e32 v30, 16, v19
	v_and_or_b32 v23, 0x8000, v27, v23
	v_cndmask_b32_e32 v20, 0x7c00, v20, vcc_lo
	v_cmp_eq_u32_e32 vcc_lo, 0x40f, v21
	v_cvt_f64_f32_e32 v[14:15], v14
	v_lshrrev_b32_e32 v21, 8, v19
	v_fma_f16 v4, v94, v26, -v4
	v_cndmask_b32_e32 v16, v20, v16, vcc_lo
	v_cmp_ne_u32_e32 vcc_lo, v22, v25
	v_bfe_u32 v22, v19, 20, 11
	v_lshl_or_b32 v25, v24, 12, v10
	v_cvt_f32_f16_e32 v0, v4
	v_and_or_b32 v16, 0x8000, v17, v16
	v_cndmask_b32_e64 v20, 0, 1, vcc_lo
	v_cmp_ne_u32_e32 vcc_lo, 0, v18
	v_or_b32_e32 v20, v29, v20
	v_cndmask_b32_e64 v18, 0, 1, vcc_lo
	v_cmp_gt_i32_e32 vcc_lo, 1, v24
	v_and_or_b32 v18, 0xffe, v21, v18
	v_sub_nc_u32_e32 v21, 0x3f1, v22
	v_cndmask_b32_e32 v20, v25, v20, vcc_lo
	v_mul_f64 v[14:15], v[14:15], s[2:3]
	v_or_b32_e32 v27, 0x1000, v18
	v_med3_i32 v17, v21, 0, 13
	v_and_b32_e32 v21, 0xffff, v23
	v_and_b32_e32 v25, 7, v20
	v_lshrrev_b32_e32 v20, 2, v20
	v_lshrrev_b32_e32 v23, v17, v27
	v_lshl_or_b32 v26, v16, 16, v21
	v_cmp_lt_i32_e32 vcc_lo, 5, v25
	v_cmp_eq_u32_e64 s0, 3, v25
	v_lshrrev_b32_e32 v25, 16, v7
	v_lshlrev_b32_e32 v4, v17, v23
	v_cvt_f64_f32_e32 v[16:17], v0
	s_or_b32 vcc_lo, s0, vcc_lo
	v_mul_f16_sdwa v28, v92, v25 dst_sel:DWORD dst_unused:UNUSED_PAD src0_sel:WORD_1 src1_sel:DWORD
	v_cmp_ne_u32_e64 s1, v4, v27
	v_add_co_ci_u32_e32 v20, vcc_lo, 0, v20, vcc_lo
	v_add_nc_u32_e32 v4, 0xfffffc10, v22
	v_cmp_ne_u32_e32 vcc_lo, 0, v10
	v_cndmask_b32_e64 v0, 0, 1, s1
	v_and_or_b32 v14, 0x1ff, v15, v14
	v_lshrrev_b32_e32 v22, 8, v15
	v_lshl_or_b32 v21, v4, 12, v18
	v_cndmask_b32_e64 v10, 0, 1, vcc_lo
	v_or_b32_e32 v0, v23, v0
	v_cmp_gt_i32_e32 vcc_lo, 1, v4
	v_bfe_u32 v23, v15, 20, 11
	v_fmac_f16_e32 v28, v92, v7
	v_lshl_or_b32 v10, v10, 9, 0x7c00
	v_mul_f16_sdwa v7, v92, v7 dst_sel:DWORD dst_unused:UNUSED_PAD src0_sel:WORD_1 src1_sel:DWORD
	v_cndmask_b32_e32 v0, v21, v0, vcc_lo
	v_add_co_u32 v12, vcc_lo, v12, s5
	v_add_co_ci_u32_e32 v13, vcc_lo, s4, v13, vcc_lo
	v_cmp_gt_i32_e32 vcc_lo, 31, v24
	v_and_b32_e32 v21, 7, v0
	v_mul_f64 v[16:17], v[16:17], s[2:3]
	v_lshrrev_b32_e32 v0, 2, v0
	v_fma_f16 v7, v92, v25, -v7
	v_cndmask_b32_e32 v20, 0x7c00, v20, vcc_lo
	v_cmp_ne_u32_e32 vcc_lo, 0, v14
	v_cmp_eq_u32_e64 s0, 3, v21
	global_store_dword v[12:13], v26, off
	v_cvt_f32_f16_e32 v7, v7
	v_lshrrev_b32_e32 v15, 16, v15
	v_cndmask_b32_e64 v14, 0, 1, vcc_lo
	v_cmp_lt_i32_e32 vcc_lo, 5, v21
	v_sub_nc_u32_e32 v21, 0x3f1, v23
	v_and_or_b32 v14, 0xffe, v22, v14
	s_or_b32 vcc_lo, s0, vcc_lo
	v_med3_i32 v21, v21, 0, 13
	v_add_co_ci_u32_e32 v0, vcc_lo, 0, v0, vcc_lo
	v_cmp_ne_u32_e32 vcc_lo, 0, v18
	v_or_b32_e32 v22, 0x1000, v14
	v_and_or_b32 v16, 0x1ff, v17, v16
	v_bfe_u32 v29, v17, 20, 11
	v_cndmask_b32_e64 v18, 0, 1, vcc_lo
	v_cmp_eq_u32_e32 vcc_lo, 0x40f, v24
	v_lshrrev_b32_e32 v27, v21, v22
	v_lshrrev_b32_e32 v24, 16, v11
	v_lshl_or_b32 v18, v18, 9, 0x7c00
	v_cndmask_b32_e32 v20, v20, v10, vcc_lo
	v_cmp_gt_i32_e32 vcc_lo, 31, v4
	v_lshlrev_b32_e32 v21, v21, v27
	v_mad_u64_u32 v[10:11], null, s8, v90, 0
	v_and_or_b32 v24, 0x8000, v24, v20
	v_cndmask_b32_e32 v0, 0x7c00, v0, vcc_lo
	v_cmp_eq_u32_e32 vcc_lo, 0x40f, v4
	v_cvt_f32_f16_e32 v20, v28
	v_add_nc_u32_e32 v28, 0xfffffc10, v23
	v_and_b32_e32 v24, 0xffff, v24
	v_cndmask_b32_e32 v4, v0, v18, vcc_lo
	v_cmp_ne_u32_e32 vcc_lo, 0, v16
	v_lshrrev_b32_e32 v16, 8, v17
	v_lshrrev_b32_e32 v17, 16, v17
	v_and_or_b32 v4, 0x8000, v30, v4
	v_cndmask_b32_e64 v0, 0, 1, vcc_lo
	v_cmp_ne_u32_e32 vcc_lo, v21, v22
	v_cvt_f64_f32_e32 v[20:21], v20
	v_lshl_or_b32 v22, v28, 12, v14
	v_lshl_or_b32 v24, v4, 16, v24
	v_and_or_b32 v16, 0xffe, v16, v0
	v_cndmask_b32_e64 v18, 0, 1, vcc_lo
	v_sub_nc_u32_e32 v0, 0x3f1, v29
	v_cmp_gt_i32_e32 vcc_lo, 1, v28
	v_or_b32_e32 v18, v27, v18
	v_med3_i32 v23, v0, 0, 13
	v_mov_b32_e32 v0, v11
	v_or_b32_e32 v27, 0x1000, v16
	v_cndmask_b32_e32 v11, v22, v18, vcc_lo
	v_mad_u64_u32 v[18:19], null, s9, v90, v[0:1]
	v_lshrrev_b32_e32 v25, v23, v27
	v_and_b32_e32 v0, 7, v11
	v_mul_f64 v[19:20], v[20:21], s[2:3]
	v_lshlrev_b32_e32 v31, v23, v25
	v_cmp_lt_i32_e32 vcc_lo, 5, v0
	v_cmp_eq_u32_e64 s0, 3, v0
	v_lshrrev_b32_e32 v0, 2, v11
	v_cvt_f64_f32_e32 v[22:23], v7
	v_cmp_ne_u32_e64 s1, v31, v27
	v_add_nc_u32_e32 v27, 0xfffffc10, v29
	s_or_b32 vcc_lo, s0, vcc_lo
	v_mov_b32_e32 v11, v18
	v_add_co_ci_u32_e32 v0, vcc_lo, 0, v0, vcc_lo
	v_cmp_ne_u32_e32 vcc_lo, 0, v14
	v_cndmask_b32_e64 v7, 0, 1, s1
	v_lshl_or_b32 v18, v27, 12, v16
	v_lshlrev_b64 v[10:11], 2, v[10:11]
	v_cndmask_b32_e64 v14, 0, 1, vcc_lo
	v_cmp_gt_i32_e32 vcc_lo, 31, v28
	v_or_b32_e32 v7, v25, v7
	v_lshl_or_b32 v14, v14, 9, 0x7c00
	v_cndmask_b32_e32 v0, 0x7c00, v0, vcc_lo
	v_cmp_gt_i32_e32 vcc_lo, 1, v27
	v_mul_f64 v[21:22], v[22:23], s[2:3]
	v_cndmask_b32_e32 v4, v18, v7, vcc_lo
	v_cmp_eq_u32_e32 vcc_lo, 0x40f, v28
	v_and_b32_e32 v18, 7, v4
	v_cndmask_b32_e32 v0, v0, v14, vcc_lo
	v_and_or_b32 v14, 0x1ff, v20, v19
	v_add_co_u32 v7, vcc_lo, v9, v10
	v_add_co_ci_u32_e32 v8, vcc_lo, v8, v11, vcc_lo
	v_cmp_ne_u32_e32 vcc_lo, 0, v14
	v_lshrrev_b32_e32 v10, 8, v20
	v_lshrrev_b32_e32 v14, 16, v3
	v_bfe_u32 v11, v20, 20, 11
	v_cmp_eq_u32_e64 s0, 3, v18
	v_cndmask_b32_e64 v9, 0, 1, vcc_lo
	v_cmp_lt_i32_e32 vcc_lo, 5, v18
	v_lshrrev_b32_e32 v4, 2, v4
	v_and_or_b32 v19, 0x1ff, v22, v21
	v_lshrrev_b32_e32 v26, 8, v22
	v_and_or_b32 v18, 0xffe, v10, v9
	v_mul_f16_sdwa v10, v93, v14 dst_sel:DWORD dst_unused:UNUSED_PAD src0_sel:WORD_1 src1_sel:DWORD
	v_sub_nc_u32_e32 v9, 0x3f1, v11
	s_or_b32 vcc_lo, s0, vcc_lo
	v_bfe_u32 v28, v22, 20, 11
	v_add_co_ci_u32_e32 v4, vcc_lo, 0, v4, vcc_lo
	v_fmac_f16_e32 v10, v93, v3
	v_med3_i32 v23, v9, 0, 13
	v_or_b32_e32 v21, 0x1000, v18
	v_cmp_ne_u32_e32 vcc_lo, 0, v19
	v_and_or_b32 v0, 0x8000, v15, v0
	v_cvt_f32_f16_e32 v9, v10
	global_store_dword v[7:8], v24, off
	v_lshrrev_b32_e32 v25, v23, v21
	v_cndmask_b32_e64 v19, 0, 1, vcc_lo
	v_cmp_ne_u32_e32 vcc_lo, 0, v16
	v_cvt_f64_f32_e32 v[9:10], v9
	v_and_b32_e32 v0, 0xffff, v0
	v_lshlrev_b32_e32 v23, v23, v25
	v_and_or_b32 v19, 0xffe, v26, v19
	v_cndmask_b32_e64 v16, 0, 1, vcc_lo
	v_cmp_gt_i32_e32 vcc_lo, 31, v27
	v_sub_nc_u32_e32 v26, 0x3f1, v28
	v_lshrrev_b32_e32 v20, 16, v20
	v_or_b32_e32 v29, 0x1000, v19
	v_cndmask_b32_e32 v4, 0x7c00, v4, vcc_lo
	v_cmp_ne_u32_e32 vcc_lo, v23, v21
	v_med3_i32 v26, v26, 0, 13
	v_add_nc_u32_e32 v23, 0xfffffc10, v11
	v_lshl_or_b32 v11, v16, 9, 0x7c00
	v_cndmask_b32_e64 v21, 0, 1, vcc_lo
	v_cmp_eq_u32_e32 vcc_lo, 0x40f, v27
	v_lshrrev_b32_e32 v15, v26, v29
	v_or_b32_e32 v16, v25, v21
	v_lshl_or_b32 v21, v23, 12, v18
	v_cndmask_b32_e32 v11, v4, v11, vcc_lo
	v_cmp_gt_i32_e32 vcc_lo, 1, v23
	v_mul_f64 v[9:10], v[9:10], s[2:3]
	v_lshlrev_b32_e32 v25, v26, v15
	v_and_or_b32 v11, 0x8000, v17, v11
	v_cndmask_b32_e32 v16, v21, v16, vcc_lo
	v_mul_f16_sdwa v21, v93, v3 dst_sel:DWORD dst_unused:UNUSED_PAD src0_sel:WORD_1 src1_sel:DWORD
	v_cmp_ne_u32_e32 vcc_lo, v25, v29
	v_mad_u64_u32 v[3:4], null, 0x1200, s8, v[12:13]
	v_and_b32_e32 v12, 7, v16
	v_fma_f16 v13, v93, v14, -v21
	v_cndmask_b32_e64 v14, 0, 1, vcc_lo
	v_add_nc_u32_e32 v17, 0xfffffc10, v28
	v_cmp_lt_i32_e32 vcc_lo, 5, v12
	v_cmp_eq_u32_e64 s0, 3, v12
	v_cvt_f32_f16_e32 v7, v13
	v_or_b32_e32 v13, v15, v14
	v_lshl_or_b32 v15, v11, 16, v0
	v_mov_b32_e32 v0, v4
	v_lshrrev_b32_e32 v4, 2, v16
	s_or_b32 vcc_lo, s0, vcc_lo
	v_cvt_f64_f32_e32 v[7:8], v7
	v_lshl_or_b32 v14, v17, 12, v19
	v_cmp_gt_i32_e64 s1, 1, v17
	v_add_co_ci_u32_e32 v4, vcc_lo, 0, v4, vcc_lo
	v_and_or_b32 v9, 0x1ff, v10, v9
	v_cmp_ne_u32_e32 vcc_lo, 0, v18
	v_cndmask_b32_e64 v13, v14, v13, s1
	v_mad_u64_u32 v[11:12], null, 0x1200, s9, v[0:1]
	v_lshrrev_b32_e32 v12, 8, v10
	v_cndmask_b32_e64 v0, 0, 1, vcc_lo
	v_cmp_ne_u32_e32 vcc_lo, 0, v9
	v_and_b32_e32 v14, 7, v13
	v_lshrrev_b32_e32 v13, 2, v13
	v_bfe_u32 v16, v10, 20, 11
	v_lshl_or_b32 v0, v0, 9, 0x7c00
	v_cndmask_b32_e64 v9, 0, 1, vcc_lo
	v_cmp_gt_i32_e32 vcc_lo, 31, v23
	v_cmp_eq_u32_e64 s0, 3, v14
	s_mul_hi_u32 s1, s8, 0xffffd540
	v_mul_f64 v[7:8], v[7:8], s[2:3]
	v_cndmask_b32_e32 v4, 0x7c00, v4, vcc_lo
	v_cmp_lt_i32_e32 vcc_lo, 5, v14
	v_and_or_b32 v9, 0xffe, v12, v9
	v_sub_nc_u32_e32 v12, 0x3f1, v16
	v_add_nc_u32_e32 v16, 0xfffffc10, v16
	s_sub_i32 s7, s1, s8
	s_or_b32 vcc_lo, s0, vcc_lo
	v_or_b32_e32 v14, 0x1000, v9
	v_add_co_ci_u32_e32 v13, vcc_lo, 0, v13, vcc_lo
	v_cmp_ne_u32_e32 vcc_lo, 0, v19
	v_med3_i32 v12, v12, 0, 13
	v_lshrrev_b32_e32 v19, 16, v2
	s_add_i32 s6, s7, s6
	s_mul_i32 s7, s8, 0xffffd540
	v_cndmask_b32_e64 v18, 0, 1, vcc_lo
	v_cmp_gt_i32_e32 vcc_lo, 31, v17
	v_lshrrev_b32_e32 v21, v12, v14
	v_mul_f16_sdwa v24, v89, v19 dst_sel:DWORD dst_unused:UNUSED_PAD src0_sel:WORD_1 src1_sel:DWORD
	v_lshl_or_b32 v18, v18, 9, 0x7c00
	v_cndmask_b32_e32 v13, 0x7c00, v13, vcc_lo
	v_cmp_eq_u32_e32 vcc_lo, 0x40f, v23
	v_fmac_f16_e32 v24, v89, v2
	v_and_or_b32 v7, 0x1ff, v8, v7
	v_mul_f16_sdwa v2, v89, v2 dst_sel:DWORD dst_unused:UNUSED_PAD src0_sel:WORD_1 src1_sel:DWORD
	v_cndmask_b32_e32 v0, v4, v0, vcc_lo
	v_lshlrev_b32_e32 v4, v12, v21
	v_cmp_eq_u32_e32 vcc_lo, 0x40f, v17
	v_cvt_f32_f16_e32 v12, v24
	v_fma_f16 v2, v89, v19, -v2
	v_and_or_b32 v0, 0x8000, v20, v0
	v_cndmask_b32_e32 v17, v13, v18, vcc_lo
	v_cmp_ne_u32_e32 vcc_lo, v4, v14
	v_cvt_f64_f32_e32 v[12:13], v12
	v_lshrrev_b32_e32 v14, 8, v8
	v_lshrrev_b32_e32 v18, 16, v22
	v_bfe_u32 v22, v8, 20, 11
	v_cndmask_b32_e64 v4, 0, 1, vcc_lo
	v_cmp_ne_u32_e32 vcc_lo, 0, v7
	v_cvt_f32_f16_e32 v2, v2
	v_and_or_b32 v17, 0x8000, v18, v17
	v_sub_nc_u32_e32 v23, 0x3f1, v22
	v_or_b32_e32 v21, v21, v4
	v_cndmask_b32_e64 v7, 0, 1, vcc_lo
	v_cmp_gt_i32_e32 vcc_lo, 1, v16
	v_mov_b32_e32 v4, v11
	v_med3_i32 v11, v23, 0, 13
	v_and_b32_e32 v0, 0xffff, v0
	v_and_or_b32 v7, 0xffe, v14, v7
	v_lshl_or_b32 v14, v16, 12, v9
	v_lshl_or_b32 v17, v17, 16, v0
	v_or_b32_e32 v20, 0x1000, v7
	v_cndmask_b32_e32 v21, v14, v21, vcc_lo
	v_lshrrev_b32_e32 v18, v11, v20
	v_and_b32_e32 v19, 7, v21
	v_lshlrev_b32_e32 v23, v11, v18
	v_cmp_lt_i32_e32 vcc_lo, 5, v19
	v_cmp_eq_u32_e64 s0, 3, v19
	v_mul_f64 v[11:12], v[12:13], s[2:3]
	v_cvt_f64_f32_e32 v[13:14], v2
	v_lshrrev_b32_e32 v2, 2, v21
	v_cmp_ne_u32_e64 s1, v23, v20
	s_or_b32 vcc_lo, s0, vcc_lo
	v_add_nc_u32_e32 v20, 0xfffffc10, v22
	v_add_co_ci_u32_e32 v2, vcc_lo, 0, v2, vcc_lo
	v_cmp_ne_u32_e32 vcc_lo, 0, v9
	v_cndmask_b32_e64 v19, 0, 1, s1
	v_cndmask_b32_e64 v9, 0, 1, vcc_lo
	v_cmp_gt_i32_e32 vcc_lo, 31, v16
	v_or_b32_e32 v18, v18, v19
	v_lshl_or_b32 v19, v20, 12, v7
	v_lshl_or_b32 v9, v9, 9, 0x7c00
	v_cndmask_b32_e32 v0, 0x7c00, v2, vcc_lo
	v_cmp_gt_i32_e32 vcc_lo, 1, v20
	v_and_or_b32 v11, 0x1ff, v12, v11
	v_mul_f64 v[13:14], v[13:14], s[2:3]
	v_cndmask_b32_e32 v2, v19, v18, vcc_lo
	v_cmp_eq_u32_e32 vcc_lo, 0x40f, v16
	v_lshrrev_b32_e32 v16, 16, v10
	v_lshrrev_b32_e32 v10, 8, v12
	;; [unrolled: 1-line block ×3, first 2 shown]
	v_and_b32_e32 v18, 7, v2
	v_cndmask_b32_e32 v0, v0, v9, vcc_lo
	v_cmp_ne_u32_e32 vcc_lo, 0, v11
	v_bfe_u32 v11, v12, 20, 11
	v_lshrrev_b32_e32 v2, 2, v2
	v_cmp_eq_u32_e64 s0, 3, v18
	v_and_or_b32 v0, 0x8000, v16, v0
	v_cndmask_b32_e64 v9, 0, 1, vcc_lo
	v_cmp_lt_i32_e32 vcc_lo, 5, v18
	v_lshrrev_b32_e32 v12, 16, v12
	v_and_or_b32 v18, 0xffe, v10, v9
	v_sub_nc_u32_e32 v9, 0x3f1, v11
	s_or_b32 vcc_lo, s0, vcc_lo
	v_mul_f16_sdwa v10, v87, v19 dst_sel:DWORD dst_unused:UNUSED_PAD src0_sel:WORD_1 src1_sel:DWORD
	v_add_co_ci_u32_e32 v2, vcc_lo, 0, v2, vcc_lo
	v_cmp_ne_u32_e32 vcc_lo, 0, v7
	v_or_b32_e32 v21, 0x1000, v18
	v_med3_i32 v9, v9, 0, 13
	v_and_or_b32 v13, 0x1ff, v14, v13
	v_fmac_f16_e32 v10, v87, v1
	v_cndmask_b32_e64 v7, 0, 1, vcc_lo
	v_cmp_gt_i32_e32 vcc_lo, 31, v20
	v_lshrrev_b32_e32 v22, v9, v21
	v_lshrrev_b32_e32 v23, 8, v14
	v_cvt_f32_f16_e32 v10, v10
	v_bfe_u32 v24, v14, 20, 11
	v_cndmask_b32_e32 v2, 0x7c00, v2, vcc_lo
	v_cmp_ne_u32_e32 vcc_lo, 0, v13
	v_lshlrev_b32_e32 v25, v9, v22
	v_cvt_f64_f32_e32 v[9:10], v10
	v_sub_nc_u32_e32 v16, 0x3f1, v24
	v_lshl_or_b32 v7, v7, 9, 0x7c00
	v_cndmask_b32_e64 v13, 0, 1, vcc_lo
	v_cmp_ne_u32_e32 vcc_lo, v25, v21
	v_add_nc_u32_e32 v11, 0xfffffc10, v11
	v_med3_i32 v16, v16, 0, 13
	v_and_or_b32 v13, 0xffe, v23, v13
	v_cndmask_b32_e64 v21, 0, 1, vcc_lo
	v_cmp_eq_u32_e32 vcc_lo, 0x40f, v20
	v_lshrrev_b32_e32 v20, 16, v8
	v_or_b32_e32 v23, 0x1000, v13
	v_or_b32_e32 v21, v22, v21
	v_cndmask_b32_e32 v2, v2, v7, vcc_lo
	v_add_co_u32 v7, vcc_lo, v3, s7
	v_add_co_ci_u32_e32 v8, vcc_lo, s6, v4, vcc_lo
	v_lshl_or_b32 v22, v11, 12, v18
	v_lshrrev_b32_e32 v25, v16, v23
	v_cmp_gt_i32_e32 vcc_lo, 1, v11
	v_and_or_b32 v2, 0x8000, v20, v2
	global_store_dword v[3:4], v15, off
	global_store_dword v[7:8], v17, off
	v_add_nc_u32_e32 v15, 0xfffffc10, v24
	v_lshlrev_b32_e32 v16, v16, v25
	v_cndmask_b32_e32 v20, v22, v21, vcc_lo
	v_mul_f16_sdwa v21, v87, v1 dst_sel:DWORD dst_unused:UNUSED_PAD src0_sel:WORD_1 src1_sel:DWORD
	v_and_b32_e32 v22, 0xffff, v0
	v_mul_f64 v[0:1], v[9:10], s[2:3]
	v_cmp_ne_u32_e64 s0, v16, v23
	v_and_b32_e32 v9, 7, v20
	v_fma_f16 v10, v87, v19, -v21
	v_lshl_or_b32 v4, v2, 16, v22
	v_lshl_or_b32 v16, v15, 12, v13
	v_cmp_lt_i32_e32 vcc_lo, 5, v9
	v_cvt_f32_f16_e32 v2, v10
	v_cndmask_b32_e64 v10, 0, 1, s0
	v_cmp_eq_u32_e64 s0, 3, v9
	v_lshrrev_b32_e32 v9, 2, v20
	v_cvt_f64_f32_e32 v[2:3], v2
	v_or_b32_e32 v10, v25, v10
	s_or_b32 vcc_lo, s0, vcc_lo
	v_add_co_ci_u32_e32 v9, vcc_lo, 0, v9, vcc_lo
	v_cmp_ne_u32_e32 vcc_lo, 0, v18
	v_and_or_b32 v0, 0x1ff, v1, v0
	v_lshrrev_b32_e32 v18, 8, v1
	v_cndmask_b32_e64 v17, 0, 1, vcc_lo
	v_cmp_gt_i32_e32 vcc_lo, 1, v15
	v_bfe_u32 v19, v1, 20, 11
	v_lshrrev_b32_e32 v1, 16, v1
	v_cndmask_b32_e32 v10, v16, v10, vcc_lo
	v_cmp_gt_i32_e32 vcc_lo, 31, v11
	v_lshl_or_b32 v16, v17, 9, 0x7c00
	v_and_b32_e32 v17, 7, v10
	v_cndmask_b32_e32 v9, 0x7c00, v9, vcc_lo
	v_cmp_ne_u32_e32 vcc_lo, 0, v0
	v_mul_f64 v[2:3], v[2:3], s[2:3]
	v_lshrrev_b32_e32 v10, 2, v10
	v_cmp_eq_u32_e64 s0, 3, v17
	v_cndmask_b32_e64 v0, 0, 1, vcc_lo
	v_cmp_eq_u32_e32 vcc_lo, 0x40f, v11
	v_and_or_b32 v0, 0xffe, v18, v0
	v_cndmask_b32_e32 v11, v9, v16, vcc_lo
	v_cmp_lt_i32_e32 vcc_lo, 5, v17
	v_lshrrev_b32_e32 v16, 16, v6
	v_sub_nc_u32_e32 v9, 0x3f1, v19
	v_or_b32_e32 v17, 0x1000, v0
	v_and_or_b32 v11, 0x8000, v12, v11
	s_or_b32 vcc_lo, s0, vcc_lo
	v_mul_f16_sdwa v18, v85, v16 dst_sel:DWORD dst_unused:UNUSED_PAD src0_sel:WORD_1 src1_sel:DWORD
	v_add_co_ci_u32_e32 v10, vcc_lo, 0, v10, vcc_lo
	v_cmp_ne_u32_e32 vcc_lo, 0, v13
	v_med3_i32 v9, v9, 0, 13
	v_fmac_f16_e32 v18, v85, v6
	v_and_or_b32 v2, 0x1ff, v3, v2
	v_mul_f16_sdwa v6, v85, v6 dst_sel:DWORD dst_unused:UNUSED_PAD src0_sel:WORD_1 src1_sel:DWORD
	v_cndmask_b32_e64 v13, 0, 1, vcc_lo
	v_cmp_gt_i32_e32 vcc_lo, 31, v15
	v_lshrrev_b32_e32 v20, v9, v17
	v_cvt_f32_f16_e32 v18, v18
	v_fma_f16 v6, v85, v16, -v6
	v_lshl_or_b32 v13, v13, 9, 0x7c00
	v_cndmask_b32_e32 v21, 0x7c00, v10, vcc_lo
	v_add_co_u32 v7, vcc_lo, v7, s5
	v_add_co_ci_u32_e32 v8, vcc_lo, s4, v8, vcc_lo
	v_cmp_eq_u32_e32 vcc_lo, 0x40f, v15
	v_lshlrev_b32_e32 v22, v9, v20
	v_cvt_f64_f32_e32 v[9:10], v18
	v_bfe_u32 v15, v3, 20, 11
	v_add_nc_u32_e32 v18, 0xfffffc10, v19
	v_cndmask_b32_e32 v12, v21, v13, vcc_lo
	v_cmp_ne_u32_e32 vcc_lo, 0, v2
	v_lshrrev_b32_e32 v13, 16, v14
	v_lshrrev_b32_e32 v14, 8, v3
	v_lshl_or_b32 v16, v18, 12, v0
	v_cvt_f32_f16_e32 v6, v6
	v_cndmask_b32_e64 v2, 0, 1, vcc_lo
	v_cmp_ne_u32_e32 vcc_lo, v22, v17
	v_and_or_b32 v13, 0x8000, v13, v12
	v_and_b32_e32 v19, 0xffff, v11
	global_store_dword v[7:8], v4, off
	v_and_or_b32 v2, 0xffe, v14, v2
	v_cndmask_b32_e64 v17, 0, 1, vcc_lo
	v_sub_nc_u32_e32 v14, 0x3f1, v15
	v_cmp_gt_i32_e32 vcc_lo, 1, v18
	v_lshl_or_b32 v4, v13, 16, v19
	v_lshrrev_b32_e32 v19, 16, v5
	v_or_b32_e32 v12, v20, v17
	v_or_b32_e32 v17, 0x1000, v2
	v_med3_i32 v14, v14, 0, 13
	v_mul_f64 v[9:10], v[9:10], s[2:3]
	v_cndmask_b32_e32 v16, v16, v12, vcc_lo
	v_cvt_f64_f32_e32 v[11:12], v6
	v_lshrrev_b32_e32 v20, v14, v17
	v_add_co_u32 v6, vcc_lo, v7, s5
	v_add_co_ci_u32_e32 v7, vcc_lo, s4, v8, vcc_lo
	v_lshlrev_b32_e32 v13, v14, v20
	v_and_b32_e32 v14, 7, v16
	v_lshrrev_b32_e32 v8, 2, v16
	global_store_dword v[6:7], v4, off
	v_cmp_ne_u32_e64 s1, v13, v17
	v_cmp_lt_i32_e32 vcc_lo, 5, v14
	v_cmp_eq_u32_e64 s0, 3, v14
	v_add_nc_u32_e32 v14, 0xfffffc10, v15
	v_cndmask_b32_e64 v13, 0, 1, s1
	s_or_b32 vcc_lo, s0, vcc_lo
	v_and_or_b32 v15, 0x1ff, v10, v9
	v_add_co_ci_u32_e32 v16, vcc_lo, 0, v8, vcc_lo
	v_cmp_ne_u32_e32 vcc_lo, 0, v0
	v_mul_f64 v[8:9], v[11:12], s[2:3]
	v_or_b32_e32 v13, v20, v13
	v_lshl_or_b32 v17, v14, 12, v2
	v_cndmask_b32_e64 v0, 0, 1, vcc_lo
	v_cmp_gt_i32_e32 vcc_lo, 31, v18
	v_lshl_or_b32 v0, v0, 9, 0x7c00
	v_cndmask_b32_e32 v11, 0x7c00, v16, vcc_lo
	v_cmp_ne_u32_e32 vcc_lo, 0, v15
	v_lshrrev_b32_e32 v15, 8, v10
	v_bfe_u32 v16, v10, 20, 11
	v_lshrrev_b32_e32 v10, 16, v10
	v_cndmask_b32_e64 v12, 0, 1, vcc_lo
	v_cmp_gt_i32_e32 vcc_lo, 1, v14
	v_and_or_b32 v12, 0xffe, v15, v12
	v_cndmask_b32_e32 v13, v17, v13, vcc_lo
	v_sub_nc_u32_e32 v15, 0x3f1, v16
	v_cmp_eq_u32_e32 vcc_lo, 0x40f, v18
	v_mul_f16_sdwa v17, v83, v19 dst_sel:DWORD dst_unused:UNUSED_PAD src0_sel:WORD_1 src1_sel:DWORD
	v_or_b32_e32 v18, 0x1000, v12
	v_and_or_b32 v8, 0x1ff, v9, v8
	v_med3_i32 v15, v15, 0, 13
	v_cndmask_b32_e32 v0, v11, v0, vcc_lo
	v_and_b32_e32 v11, 7, v13
	v_fmac_f16_e32 v17, v83, v5
	v_lshrrev_b32_e32 v13, 2, v13
	v_cmp_ne_u32_e64 s1, 0, v8
	v_and_or_b32 v20, 0x8000, v1, v0
	v_cmp_lt_i32_e32 vcc_lo, 5, v11
	v_cmp_eq_u32_e64 s0, 3, v11
	v_lshrrev_b32_e32 v11, v15, v18
	v_cvt_f32_f16_e32 v17, v17
	v_cndmask_b32_e64 v8, 0, 1, s1
	v_bfe_u32 v21, v9, 20, 11
	s_or_b32 vcc_lo, s0, vcc_lo
	v_lshlrev_b32_e32 v15, v15, v11
	v_add_co_ci_u32_e32 v13, vcc_lo, 0, v13, vcc_lo
	v_cvt_f64_f32_e32 v[0:1], v17
	v_lshrrev_b32_e32 v17, 8, v9
	v_cmp_ne_u32_e32 vcc_lo, v15, v18
	v_add_nc_u32_e32 v16, 0xfffffc10, v16
	v_mul_f16_sdwa v5, v83, v5 dst_sel:DWORD dst_unused:UNUSED_PAD src0_sel:WORD_1 src1_sel:DWORD
	v_and_b32_e32 v20, 0xffff, v20
	v_and_or_b32 v8, 0xffe, v17, v8
	v_cndmask_b32_e64 v15, 0, 1, vcc_lo
	v_sub_nc_u32_e32 v17, 0x3f1, v21
	v_cmp_ne_u32_e32 vcc_lo, 0, v2
	v_fma_f16 v5, v83, v19, -v5
	v_or_b32_e32 v22, 0x1000, v8
	v_or_b32_e32 v2, v11, v15
	v_med3_i32 v17, v17, 0, 13
	v_cndmask_b32_e64 v18, 0, 1, vcc_lo
	v_cmp_gt_i32_e32 vcc_lo, 31, v14
	v_lshl_or_b32 v11, v16, 12, v12
	v_lshrrev_b32_e32 v9, 16, v9
	v_lshrrev_b32_e32 v15, v17, v22
	v_cndmask_b32_e32 v13, 0x7c00, v13, vcc_lo
	v_cmp_gt_i32_e32 vcc_lo, 1, v16
	v_lshlrev_b32_e32 v17, v17, v15
	v_cndmask_b32_e32 v11, v11, v2, vcc_lo
	v_mul_f64 v[1:2], v[0:1], s[2:3]
	v_lshl_or_b32 v0, v18, 9, 0x7c00
	v_cmp_eq_u32_e32 vcc_lo, 0x40f, v14
	v_cmp_ne_u32_e64 s0, v17, v22
	v_and_b32_e32 v18, 7, v11
	v_lshrrev_b32_e32 v14, 16, v3
	v_add_nc_u32_e32 v17, 0xfffffc10, v21
	v_cndmask_b32_e32 v13, v13, v0, vcc_lo
	v_cvt_f32_f16_e32 v0, v5
	v_cmp_lt_i32_e32 vcc_lo, 5, v18
	v_cndmask_b32_e64 v5, 0, 1, s0
	v_cmp_eq_u32_e64 s0, 3, v18
	v_and_or_b32 v13, 0x8000, v14, v13
	v_cvt_f64_f32_e32 v[3:4], v0
	v_lshrrev_b32_e32 v0, 2, v11
	v_or_b32_e32 v5, v15, v5
	s_or_b32 vcc_lo, s0, vcc_lo
	v_lshl_or_b32 v11, v17, 12, v8
	v_lshl_or_b32 v20, v13, 16, v20
	v_add_co_ci_u32_e32 v15, vcc_lo, 0, v0, vcc_lo
	v_cmp_ne_u32_e32 vcc_lo, 0, v12
	v_and_or_b32 v18, 0x1ff, v2, v1
	ds_read2_b32 v[0:1], v91 offset0:32 offset1:176
	v_lshrrev_b32_e32 v19, 8, v2
	v_bfe_u32 v21, v2, 20, 11
	v_cndmask_b32_e64 v12, 0, 1, vcc_lo
	v_cmp_gt_i32_e32 vcc_lo, 1, v17
	v_lshrrev_b32_e32 v2, 16, v2
	v_lshl_or_b32 v12, v12, 9, 0x7c00
	v_cndmask_b32_e32 v11, v11, v5, vcc_lo
	v_cmp_gt_i32_e32 vcc_lo, 31, v16
	v_mul_f64 v[4:5], v[3:4], s[2:3]
	v_cndmask_b32_e32 v14, 0x7c00, v15, vcc_lo
	v_cmp_ne_u32_e32 vcc_lo, 0, v18
	v_and_b32_e32 v15, 7, v11
	v_lshrrev_b32_e32 v11, 2, v11
	v_cndmask_b32_e64 v18, 0, 1, vcc_lo
	v_cmp_eq_u32_e32 vcc_lo, 0x40f, v16
	v_cmp_eq_u32_e64 s0, 3, v15
	s_waitcnt lgkmcnt(0)
	v_lshrrev_b32_e32 v16, 16, v0
	v_cndmask_b32_e32 v3, v14, v12, vcc_lo
	v_cmp_lt_i32_e32 vcc_lo, 5, v15
	v_and_or_b32 v12, 0xffe, v19, v18
	v_sub_nc_u32_e32 v14, 0x3f1, v21
	v_mul_f16_sdwa v18, v79, v16 dst_sel:DWORD dst_unused:UNUSED_PAD src0_sel:WORD_1 src1_sel:DWORD
	v_and_or_b32 v10, 0x8000, v10, v3
	s_or_b32 vcc_lo, s0, vcc_lo
	v_or_b32_e32 v15, 0x1000, v12
	v_add_co_ci_u32_e32 v11, vcc_lo, 0, v11, vcc_lo
	v_cmp_ne_u32_e32 vcc_lo, 0, v8
	v_med3_i32 v14, v14, 0, 13
	v_fmac_f16_e32 v18, v79, v0
	v_and_or_b32 v22, 0x1ff, v5, v4
	v_mul_f16_sdwa v0, v79, v0 dst_sel:DWORD dst_unused:UNUSED_PAD src0_sel:WORD_1 src1_sel:DWORD
	v_cndmask_b32_e64 v8, 0, 1, vcc_lo
	v_cmp_gt_i32_e32 vcc_lo, 31, v17
	v_lshrrev_b32_e32 v19, v14, v15
	v_and_b32_e32 v10, 0xffff, v10
	v_fma_f16 v0, v79, v16, -v0
	v_lshl_or_b32 v4, v8, 9, 0x7c00
	v_cndmask_b32_e32 v11, 0x7c00, v11, vcc_lo
	v_cmp_eq_u32_e32 vcc_lo, 0x40f, v17
	v_cvt_f32_f16_e32 v8, v18
	v_lshlrev_b32_e32 v14, v14, v19
	v_lshrrev_b32_e32 v17, 8, v5
	v_bfe_u32 v18, v5, 20, 11
	v_cndmask_b32_e32 v11, v11, v4, vcc_lo
	v_cmp_ne_u32_e32 vcc_lo, 0, v22
	v_cvt_f64_f32_e32 v[3:4], v8
	v_cvt_f32_f16_e32 v0, v0
	v_lshrrev_b32_e32 v5, 16, v5
	v_and_or_b32 v11, 0x8000, v9, v11
	v_cndmask_b32_e64 v8, 0, 1, vcc_lo
	v_cmp_ne_u32_e32 vcc_lo, v14, v15
	v_add_nc_u32_e32 v15, 0xfffffc10, v21
	v_and_or_b32 v17, 0xffe, v17, v8
	v_cndmask_b32_e64 v14, 0, 1, vcc_lo
	v_sub_nc_u32_e32 v8, 0x3f1, v18
	v_cmp_gt_i32_e32 vcc_lo, 1, v15
	v_or_b32_e32 v21, 0x1000, v17
	v_or_b32_e32 v14, v19, v14
	v_lshl_or_b32 v19, v15, 12, v12
	v_med3_i32 v22, v8, 0, 13
	v_cndmask_b32_e32 v13, v19, v14, vcc_lo
	v_lshrrev_b32_e32 v14, v22, v21
	v_mul_f64 v[8:9], v[3:4], s[2:3]
	v_add_co_u32 v6, vcc_lo, v6, s5
	v_and_b32_e32 v16, 7, v13
	v_lshlrev_b32_e32 v3, v22, v14
	v_add_co_ci_u32_e32 v7, vcc_lo, s4, v7, vcc_lo
	v_lshl_or_b32 v19, v11, 16, v10
	v_cmp_lt_i32_e32 vcc_lo, 5, v16
	v_cmp_eq_u32_e64 s0, 3, v16
	v_cvt_f64_f32_e32 v[10:11], v0
	v_lshrrev_b32_e32 v0, 2, v13
	v_cmp_ne_u32_e64 s1, v3, v21
	v_add_nc_u32_e32 v16, 0xfffffc10, v18
	s_or_b32 vcc_lo, s0, vcc_lo
	v_add_co_ci_u32_e32 v0, vcc_lo, 0, v0, vcc_lo
	v_cndmask_b32_e64 v3, 0, 1, s1
	v_cmp_ne_u32_e32 vcc_lo, 0, v12
	v_and_or_b32 v8, 0x1ff, v9, v8
	v_or_b32_e32 v13, v14, v3
	v_lshl_or_b32 v14, v16, 12, v17
	v_cndmask_b32_e64 v12, 0, 1, vcc_lo
	v_cmp_gt_i32_e32 vcc_lo, 1, v16
	ds_read2_b32 v[3:4], v88 offset0:96 offset1:240
	v_lshrrev_b32_e32 v18, 8, v9
	v_bfe_u32 v21, v9, 20, 11
	v_lshl_or_b32 v12, v12, 9, 0x7c00
	v_cndmask_b32_e32 v13, v14, v13, vcc_lo
	v_cmp_gt_i32_e32 vcc_lo, 31, v15
	v_mul_f64 v[10:11], v[10:11], s[2:3]
	v_and_b32_e32 v14, 7, v13
	v_cndmask_b32_e32 v0, 0x7c00, v0, vcc_lo
	v_cmp_ne_u32_e32 vcc_lo, 0, v8
	v_lshrrev_b32_e32 v13, 2, v13
	v_cmp_eq_u32_e64 s0, 3, v14
	v_cndmask_b32_e64 v8, 0, 1, vcc_lo
	v_cmp_eq_u32_e32 vcc_lo, 0x40f, v15
	v_and_or_b32 v8, 0xffe, v18, v8
	v_cndmask_b32_e32 v0, v0, v12, vcc_lo
	v_cmp_lt_i32_e32 vcc_lo, 5, v14
	v_sub_nc_u32_e32 v12, 0x3f1, v21
	s_waitcnt lgkmcnt(0)
	v_lshrrev_b32_e32 v18, 16, v3
	v_or_b32_e32 v14, 0x1000, v8
	v_and_or_b32 v0, 0x8000, v2, v0
	s_or_b32 vcc_lo, s0, vcc_lo
	v_med3_i32 v12, v12, 0, 13
	v_add_co_ci_u32_e32 v13, vcc_lo, 0, v13, vcc_lo
	v_cmp_ne_u32_e32 vcc_lo, 0, v17
	v_mul_f16_sdwa v15, v80, v18 dst_sel:DWORD dst_unused:UNUSED_PAD src0_sel:WORD_1 src1_sel:DWORD
	v_lshrrev_b32_e32 v22, v12, v14
	v_and_or_b32 v10, 0x1ff, v11, v10
	v_bfe_u32 v25, v11, 20, 11
	v_cndmask_b32_e64 v17, 0, 1, vcc_lo
	v_cmp_gt_i32_e32 vcc_lo, 31, v16
	v_fmac_f16_e32 v15, v80, v3
	v_lshlrev_b32_e32 v24, v12, v22
	v_add_nc_u32_e32 v21, 0xfffffc10, v21
	v_lshl_or_b32 v17, v17, 9, 0x7c00
	v_cndmask_b32_e32 v23, 0x7c00, v13, vcc_lo
	v_cmp_ne_u32_e32 vcc_lo, 0, v10
	v_cvt_f32_f16_e32 v15, v15
	v_lshrrev_b32_e32 v10, 8, v11
	v_mul_f16_sdwa v3, v80, v3 dst_sel:DWORD dst_unused:UNUSED_PAD src0_sel:WORD_1 src1_sel:DWORD
	v_and_b32_e32 v0, 0xffff, v0
	v_cndmask_b32_e64 v2, 0, 1, vcc_lo
	v_cmp_ne_u32_e32 vcc_lo, v24, v14
	v_cvt_f64_f32_e32 v[12:13], v15
	v_fma_f16 v3, v80, v18, -v3
	v_add_nc_u32_e32 v18, 0xfffffc10, v25
	v_and_or_b32 v10, 0xffe, v10, v2
	v_cndmask_b32_e64 v14, 0, 1, vcc_lo
	v_cmp_eq_u32_e32 vcc_lo, 0x40f, v16
	v_sub_nc_u32_e32 v2, 0x3f1, v25
	v_cvt_f32_f16_e32 v3, v3
	v_lshrrev_b32_e32 v11, 16, v11
	v_cndmask_b32_e32 v16, v23, v17, vcc_lo
	v_or_b32_e32 v17, v22, v14
	v_add_co_u32 v14, vcc_lo, v6, s5
	v_add_co_ci_u32_e32 v15, vcc_lo, s4, v7, vcc_lo
	v_lshl_or_b32 v22, v21, 12, v8
	v_cmp_gt_i32_e32 vcc_lo, 1, v21
	v_or_b32_e32 v23, 0x1000, v10
	v_med3_i32 v2, v2, 0, 13
	v_and_or_b32 v5, 0x8000, v5, v16
	global_store_dword v[6:7], v20, off
	global_store_dword v[14:15], v19, off
	v_cndmask_b32_e32 v17, v22, v17, vcc_lo
	v_mul_f64 v[12:13], v[12:13], s[2:3]
	v_lshrrev_b32_e32 v24, v2, v23
	v_lshl_or_b32 v19, v18, 12, v10
	v_lshl_or_b32 v0, v5, 16, v0
	v_and_b32_e32 v16, 7, v17
	v_lshrrev_b32_e32 v6, 2, v17
	v_lshlrev_b32_e32 v2, v2, v24
	v_cmp_lt_i32_e32 vcc_lo, 5, v16
	v_cmp_eq_u32_e64 s0, 3, v16
	v_cmp_ne_u32_e64 s1, v2, v23
	v_cvt_f64_f32_e32 v[2:3], v3
	v_lshrrev_b32_e32 v23, 16, v9
	s_or_b32 vcc_lo, s0, vcc_lo
	v_cndmask_b32_e64 v7, 0, 1, s1
	v_add_co_ci_u32_e32 v16, vcc_lo, 0, v6, vcc_lo
	v_cmp_ne_u32_e32 vcc_lo, 0, v8
	v_or_b32_e32 v17, v24, v7
	ds_read2_b32 v[6:7], v86 offset0:32 offset1:176
	v_and_or_b32 v12, 0x1ff, v13, v12
	v_cndmask_b32_e64 v8, 0, 1, vcc_lo
	v_cmp_gt_i32_e32 vcc_lo, 1, v18
	v_bfe_u32 v22, v13, 20, 11
	v_lshl_or_b32 v8, v8, 9, 0x7c00
	v_cndmask_b32_e32 v19, v19, v17, vcc_lo
	v_cmp_gt_i32_e32 vcc_lo, 31, v21
	v_and_b32_e32 v20, 7, v19
	v_cndmask_b32_e32 v5, 0x7c00, v16, vcc_lo
	v_cmp_ne_u32_e32 vcc_lo, 0, v12
	v_lshrrev_b32_e32 v16, 8, v13
	v_cmp_eq_u32_e64 s0, 3, v20
	v_cndmask_b32_e64 v12, 0, 1, vcc_lo
	v_cmp_eq_u32_e32 vcc_lo, 0x40f, v21
	s_waitcnt lgkmcnt(0)
	v_lshrrev_b32_e32 v21, 16, v6
	v_and_or_b32 v12, 0xffe, v16, v12
	v_cndmask_b32_e32 v5, v5, v8, vcc_lo
	v_cmp_lt_i32_e32 vcc_lo, 5, v20
	v_mul_f64 v[16:17], v[2:3], s[2:3]
	v_sub_nc_u32_e32 v2, 0x3f1, v22
	v_lshrrev_b32_e32 v3, 2, v19
	v_or_b32_e32 v19, 0x1000, v12
	s_or_b32 vcc_lo, s0, vcc_lo
	v_mul_f16_sdwa v8, v78, v21 dst_sel:DWORD dst_unused:UNUSED_PAD src0_sel:WORD_1 src1_sel:DWORD
	v_med3_i32 v2, v2, 0, 13
	v_add_co_ci_u32_e32 v3, vcc_lo, 0, v3, vcc_lo
	v_cmp_ne_u32_e32 vcc_lo, 0, v10
	v_fmac_f16_e32 v8, v78, v6
	v_lshrrev_b32_e32 v20, v2, v19
	v_and_or_b32 v5, 0x8000, v23, v5
	v_mul_f16_sdwa v6, v78, v6 dst_sel:DWORD dst_unused:UNUSED_PAD src0_sel:WORD_1 src1_sel:DWORD
	v_cndmask_b32_e64 v10, 0, 1, vcc_lo
	v_cmp_gt_i32_e32 vcc_lo, 31, v18
	v_lshlrev_b32_e32 v24, v2, v20
	v_cvt_f32_f16_e32 v2, v8
	v_and_b32_e32 v5, 0xffff, v5
	v_lshl_or_b32 v10, v10, 9, 0x7c00
	v_cndmask_b32_e32 v25, 0x7c00, v3, vcc_lo
	v_add_co_u32 v8, vcc_lo, v14, s5
	v_add_co_ci_u32_e32 v9, vcc_lo, s4, v15, vcc_lo
	v_cmp_ne_u32_e32 vcc_lo, v24, v19
	v_and_or_b32 v16, 0x1ff, v17, v16
	v_cvt_f64_f32_e32 v[2:3], v2
	v_bfe_u32 v19, v17, 20, 11
	global_store_dword v[8:9], v0, off
	v_cndmask_b32_e64 v14, 0, 1, vcc_lo
	v_cmp_eq_u32_e32 vcc_lo, 0x40f, v18
	v_add_nc_u32_e32 v18, 0xfffffc10, v22
	v_add_co_u32 v8, s1, v8, s7
	v_or_b32_e32 v14, v20, v14
	v_cndmask_b32_e32 v10, v25, v10, vcc_lo
	v_cmp_ne_u32_e32 vcc_lo, 0, v16
	v_lshrrev_b32_e32 v16, 8, v17
	v_lshl_or_b32 v20, v18, 12, v12
	v_add_co_ci_u32_e64 v9, s1, s6, v9, s1
	v_cndmask_b32_e64 v15, 0, 1, vcc_lo
	v_cmp_gt_i32_e32 vcc_lo, 1, v18
	v_and_or_b32 v22, 0x8000, v11, v10
	v_sub_nc_u32_e32 v10, 0x3f1, v19
	v_add_nc_u32_e32 v19, 0xfffffc10, v19
	v_and_or_b32 v16, 0xffe, v16, v15
	v_cndmask_b32_e32 v14, v20, v14, vcc_lo
	v_med3_i32 v20, v10, 0, 13
	v_mul_f64 v[10:11], v[2:3], s[2:3]
	v_or_b32_e32 v15, 0x1000, v16
	v_and_b32_e32 v2, 7, v14
	v_fma_f16 v3, v78, v21, -v6
	v_lshrrev_b32_e32 v14, 2, v14
	v_lshl_or_b32 v21, v22, 16, v5
	v_lshrrev_b32_e32 v0, v20, v15
	v_cmp_lt_i32_e32 vcc_lo, 5, v2
	v_cmp_eq_u32_e64 s0, 3, v2
	v_cvt_f32_f16_e32 v5, v3
	ds_read2_b32 v[2:3], v84 offset0:96 offset1:240
	v_lshlrev_b32_e32 v20, v20, v0
	global_store_dword v[8:9], v21, off
	s_or_b32 vcc_lo, s0, vcc_lo
	v_cvt_f64_f32_e32 v[5:6], v5
	v_add_co_ci_u32_e32 v14, vcc_lo, 0, v14, vcc_lo
	v_cmp_ne_u32_e32 vcc_lo, v20, v15
	v_cndmask_b32_e64 v15, 0, 1, vcc_lo
	v_cmp_ne_u32_e32 vcc_lo, 0, v12
	v_and_or_b32 v10, 0x1ff, v11, v10
	v_bfe_u32 v22, v11, 20, 11
	v_or_b32_e32 v0, v0, v15
	v_cndmask_b32_e64 v12, 0, 1, vcc_lo
	v_cmp_gt_i32_e32 vcc_lo, 31, v18
	v_lshl_or_b32 v15, v19, 12, v16
	s_waitcnt lgkmcnt(0)
	v_lshrrev_b32_e32 v23, 16, v2
	v_cndmask_b32_e32 v20, 0x7c00, v14, vcc_lo
	v_cmp_ne_u32_e32 vcc_lo, 0, v10
	v_lshrrev_b32_e32 v14, 8, v11
	v_lshrrev_b32_e32 v11, 16, v11
	v_cndmask_b32_e64 v10, 0, 1, vcc_lo
	v_cmp_gt_i32_e32 vcc_lo, 1, v19
	v_and_or_b32 v24, 0xffe, v14, v10
	v_cndmask_b32_e32 v0, v15, v0, vcc_lo
	v_mul_f64 v[14:15], v[5:6], s[2:3]
	v_sub_nc_u32_e32 v5, 0x3f1, v22
	v_lshl_or_b32 v10, v12, 9, 0x7c00
	v_cmp_eq_u32_e32 vcc_lo, 0x40f, v18
	v_and_b32_e32 v12, 7, v0
	v_or_b32_e32 v25, 0x1000, v24
	v_med3_i32 v5, v5, 0, 13
	v_mul_f16_sdwa v6, v77, v23 dst_sel:DWORD dst_unused:UNUSED_PAD src0_sel:WORD_1 src1_sel:DWORD
	v_cndmask_b32_e32 v10, v20, v10, vcc_lo
	v_cmp_lt_i32_e32 vcc_lo, 5, v12
	v_cmp_eq_u32_e64 s0, 3, v12
	v_lshrrev_b32_e32 v0, 2, v0
	v_lshrrev_b32_e32 v18, v5, v25
	v_fmac_f16_e32 v6, v77, v2
	v_lshrrev_b32_e32 v12, 16, v13
	s_or_b32 vcc_lo, s0, vcc_lo
	v_add_nc_u32_e32 v20, 0xfffffc10, v22
	v_add_co_ci_u32_e32 v0, vcc_lo, 0, v0, vcc_lo
	v_lshlrev_b32_e32 v13, v5, v18
	v_cmp_ne_u32_e32 vcc_lo, 0, v16
	v_cvt_f32_f16_e32 v6, v6
	v_and_or_b32 v10, 0x8000, v12, v10
	v_and_or_b32 v12, 0x1ff, v15, v14
	v_bfe_u32 v26, v15, 20, 11
	v_cndmask_b32_e64 v14, 0, 1, vcc_lo
	v_cmp_ne_u32_e32 vcc_lo, v13, v25
	v_cvt_f64_f32_e32 v[5:6], v6
	v_lshrrev_b32_e32 v25, 8, v15
	v_mul_f16_sdwa v2, v77, v2 dst_sel:DWORD dst_unused:UNUSED_PAD src0_sel:WORD_1 src1_sel:DWORD
	v_lshl_or_b32 v14, v14, 9, 0x7c00
	v_cndmask_b32_e64 v13, 0, 1, vcc_lo
	v_cmp_gt_i32_e32 vcc_lo, 31, v19
	v_add_nc_u32_e32 v21, 0xfffffc10, v26
	v_fma_f16 v2, v77, v23, -v2
	v_cmp_eq_u32_e64 s1, 0x40f, v20
	v_or_b32_e32 v16, v18, v13
	v_cndmask_b32_e32 v0, 0x7c00, v0, vcc_lo
	v_cmp_ne_u32_e32 vcc_lo, 0, v12
	v_lshl_or_b32 v18, v20, 12, v24
	v_cvt_f32_f16_e32 v2, v2
	v_lshrrev_b32_e32 v15, 16, v15
	v_cndmask_b32_e64 v22, 0, 1, vcc_lo
	v_cmp_eq_u32_e32 vcc_lo, 0x40f, v19
	v_and_or_b32 v22, 0xffe, v25, v22
	v_cndmask_b32_e32 v0, v0, v14, vcc_lo
	v_cmp_gt_i32_e32 vcc_lo, 1, v20
	v_lshrrev_b32_e32 v14, 16, v17
	v_mul_f64 v[12:13], v[5:6], s[2:3]
	v_sub_nc_u32_e32 v5, 0x3f1, v26
	v_cndmask_b32_e32 v18, v18, v16, vcc_lo
	v_and_or_b32 v0, 0x8000, v14, v0
	v_or_b32_e32 v14, 0x1000, v22
	v_med3_i32 v19, v5, 0, 13
	v_and_b32_e32 v5, 0xffff, v10
	v_and_b32_e32 v6, 7, v18
	v_cvt_f64_f32_e32 v[16:17], v2
	v_lshrrev_b32_e32 v2, 2, v18
	v_lshrrev_b32_e32 v10, v19, v14
	v_lshl_or_b32 v0, v0, 16, v5
	v_cmp_lt_i32_e32 vcc_lo, 5, v6
	v_cmp_eq_u32_e64 s0, 3, v6
	ds_read2_b32 v[5:6], v82 offset0:32 offset1:176
	v_lshlrev_b32_e32 v18, v19, v10
	s_or_b32 vcc_lo, s0, vcc_lo
	v_add_co_ci_u32_e32 v2, vcc_lo, 0, v2, vcc_lo
	v_cmp_ne_u32_e32 vcc_lo, v18, v14
	v_and_or_b32 v12, 0x1ff, v13, v12
	v_lshrrev_b32_e32 v23, 8, v13
	v_bfe_u32 v25, v13, 20, 11
	v_lshrrev_b32_e32 v13, 16, v13
	v_cndmask_b32_e64 v14, 0, 1, vcc_lo
	v_add_co_u32 v18, vcc_lo, v8, s5
	v_add_co_ci_u32_e32 v19, vcc_lo, s4, v9, vcc_lo
	v_cmp_ne_u32_e32 vcc_lo, 0, v12
	v_or_b32_e32 v8, v10, v14
	v_lshl_or_b32 v14, v21, 12, v22
	v_mul_f64 v[9:10], v[16:17], s[2:3]
	s_waitcnt lgkmcnt(0)
	v_lshrrev_b32_e32 v26, 16, v5
	v_cndmask_b32_e64 v12, 0, 1, vcc_lo
	v_cmp_gt_i32_e32 vcc_lo, 1, v21
	v_mul_f16_sdwa v16, v76, v26 dst_sel:DWORD dst_unused:UNUSED_PAD src0_sel:WORD_1 src1_sel:DWORD
	v_cndmask_b32_e32 v8, v14, v8, vcc_lo
	v_cmp_ne_u32_e32 vcc_lo, 0, v24
	v_and_or_b32 v14, 0xffe, v23, v12
	v_sub_nc_u32_e32 v12, 0x3f1, v25
	v_fmac_f16_e32 v16, v76, v5
	v_and_b32_e32 v23, 7, v8
	v_cndmask_b32_e64 v17, 0, 1, vcc_lo
	v_cmp_gt_i32_e32 vcc_lo, 31, v20
	v_or_b32_e32 v24, 0x1000, v14
	v_med3_i32 v12, v12, 0, 13
	v_cmp_eq_u32_e64 s0, 3, v23
	v_lshrrev_b32_e32 v8, 2, v8
	v_cndmask_b32_e32 v2, 0x7c00, v2, vcc_lo
	v_cmp_lt_i32_e32 vcc_lo, 5, v23
	v_lshrrev_b32_e32 v27, v12, v24
	v_lshl_or_b32 v17, v17, 9, 0x7c00
	v_cvt_f32_f16_e32 v16, v16
	v_and_or_b32 v9, 0x1ff, v10, v9
	s_or_b32 vcc_lo, s0, vcc_lo
	v_lshlrev_b32_e32 v12, v12, v27
	v_add_co_ci_u32_e32 v8, vcc_lo, 0, v8, vcc_lo
	v_cmp_ne_u32_e32 vcc_lo, 0, v22
	v_cndmask_b32_e64 v2, v2, v17, s1
	v_cvt_f64_f32_e32 v[16:17], v16
	v_lshrrev_b32_e32 v23, 8, v10
	v_add_nc_u32_e32 v22, 0xfffffc10, v25
	v_cndmask_b32_e64 v20, 0, 1, vcc_lo
	v_cmp_ne_u32_e32 vcc_lo, v12, v24
	v_bfe_u32 v24, v10, 20, 11
	v_mul_f16_sdwa v5, v76, v5 dst_sel:DWORD dst_unused:UNUSED_PAD src0_sel:WORD_1 src1_sel:DWORD
	v_lshl_or_b32 v25, v22, 12, v14
	v_lshl_or_b32 v20, v20, 9, 0x7c00
	v_cndmask_b32_e64 v12, 0, 1, vcc_lo
	v_cmp_ne_u32_e32 vcc_lo, 0, v9
	v_fma_f16 v5, v76, v26, -v5
	v_and_or_b32 v2, 0x8000, v11, v2
	v_or_b32_e32 v12, v27, v12
	v_cndmask_b32_e64 v9, 0, 1, vcc_lo
	v_cmp_gt_i32_e32 vcc_lo, 31, v21
	v_cvt_f32_f16_e32 v5, v5
	v_and_b32_e32 v2, 0xffff, v2
	v_and_or_b32 v23, 0xffe, v23, v9
	v_sub_nc_u32_e32 v9, 0x3f1, v24
	v_cndmask_b32_e32 v8, 0x7c00, v8, vcc_lo
	v_cmp_eq_u32_e32 vcc_lo, 0x40f, v21
	v_mul_f64 v[16:17], v[16:17], s[2:3]
	v_or_b32_e32 v27, 0x1000, v23
	v_med3_i32 v9, v9, 0, 13
	v_cndmask_b32_e32 v8, v8, v20, vcc_lo
	v_cmp_gt_i32_e32 vcc_lo, 1, v22
	v_lshrrev_b32_e32 v21, v9, v27
	v_cndmask_b32_e32 v20, v25, v12, vcc_lo
	v_cvt_f64_f32_e32 v[11:12], v5
	v_lshlrev_b32_e32 v9, v9, v21
	v_and_or_b32 v5, 0x8000, v15, v8
	v_add_nc_u32_e32 v15, 0xfffffc10, v24
	v_and_b32_e32 v25, 7, v20
	v_cmp_ne_u32_e64 s0, v9, v27
	v_lshrrev_b32_e32 v9, 2, v20
	v_lshl_or_b32 v2, v5, 16, v2
	v_cmp_lt_i32_e32 vcc_lo, 5, v25
	v_cmp_eq_u32_e64 s1, 0x40f, v15
	v_cndmask_b32_e64 v8, 0, 1, s0
	v_cmp_eq_u32_e64 s0, 3, v25
	v_and_or_b32 v16, 0x1ff, v17, v16
	v_lshrrev_b32_e32 v25, 8, v17
	v_bfe_u32 v26, v17, 20, 11
	v_or_b32_e32 v20, v21, v8
	s_or_b32 vcc_lo, s0, vcc_lo
	v_lshl_or_b32 v21, v15, 12, v23
	v_add_co_ci_u32_e32 v24, vcc_lo, 0, v9, vcc_lo
	v_cmp_ne_u32_e32 vcc_lo, 0, v14
	ds_read2_b32 v[8:9], v81 offset0:96 offset1:240
	v_mul_f64 v[11:12], v[11:12], s[2:3]
	v_cndmask_b32_e64 v14, 0, 1, vcc_lo
	v_cmp_ne_u32_e32 vcc_lo, 0, v16
	v_lshl_or_b32 v14, v14, 9, 0x7c00
	v_cndmask_b32_e64 v16, 0, 1, vcc_lo
	v_cmp_gt_i32_e32 vcc_lo, 1, v15
	v_cndmask_b32_e32 v20, v21, v20, vcc_lo
	v_and_or_b32 v21, 0xffe, v25, v16
	v_sub_nc_u32_e32 v16, 0x3f1, v26
	v_cmp_gt_i32_e32 vcc_lo, 31, v22
	v_and_b32_e32 v27, 7, v20
	v_or_b32_e32 v25, 0x1000, v21
	v_med3_i32 v16, v16, 0, 13
	v_cndmask_b32_e32 v24, 0x7c00, v24, vcc_lo
	v_cmp_eq_u32_e32 vcc_lo, 0x40f, v22
	v_cmp_eq_u32_e64 s0, 3, v27
	s_waitcnt lgkmcnt(0)
	v_lshrrev_b32_e32 v22, 16, v8
	v_lshrrev_b32_e32 v20, 2, v20
	v_and_or_b32 v11, 0x1ff, v12, v11
	v_cndmask_b32_e32 v5, v24, v14, vcc_lo
	v_lshrrev_b32_e32 v14, v16, v25
	v_cmp_lt_i32_e32 vcc_lo, 5, v27
	v_mul_f16_sdwa v24, v75, v22 dst_sel:DWORD dst_unused:UNUSED_PAD src0_sel:WORD_1 src1_sel:DWORD
	v_and_or_b32 v5, 0x8000, v13, v5
	v_lshlrev_b32_e32 v16, v16, v14
	s_or_b32 vcc_lo, s0, vcc_lo
	v_fmac_f16_e32 v24, v75, v8
	v_add_co_ci_u32_e32 v20, vcc_lo, 0, v20, vcc_lo
	v_cmp_ne_u32_e32 vcc_lo, v16, v25
	v_add_nc_u32_e32 v25, 0xfffffc10, v26
	v_cvt_f32_f16_e32 v16, v24
	v_lshrrev_b32_e32 v24, 8, v12
	v_bfe_u32 v26, v12, 20, 11
	v_cndmask_b32_e64 v13, 0, 1, vcc_lo
	v_cmp_ne_u32_e32 vcc_lo, 0, v11
	v_lshl_or_b32 v28, v25, 12, v21
	v_mul_f16_sdwa v8, v75, v8 dst_sel:DWORD dst_unused:UNUSED_PAD src0_sel:WORD_1 src1_sel:DWORD
	v_and_b32_e32 v5, 0xffff, v5
	v_or_b32_e32 v27, v14, v13
	v_cndmask_b32_e64 v11, 0, 1, vcc_lo
	v_cmp_gt_i32_e32 vcc_lo, 1, v25
	v_cvt_f64_f32_e32 v[13:14], v16
	v_fma_f16 v8, v75, v22, -v8
	v_and_or_b32 v24, 0xffe, v24, v11
	v_sub_nc_u32_e32 v11, 0x3f1, v26
	v_cndmask_b32_e32 v16, v28, v27, vcc_lo
	v_cmp_ne_u32_e32 vcc_lo, 0, v23
	v_cvt_f32_f16_e32 v8, v8
	v_or_b32_e32 v27, 0x1000, v24
	v_med3_i32 v11, v11, 0, 13
	v_and_b32_e32 v28, 7, v16
	v_cndmask_b32_e64 v23, 0, 1, vcc_lo
	v_cmp_gt_i32_e32 vcc_lo, 31, v15
	v_lshrrev_b32_e32 v15, 2, v16
	v_lshrrev_b32_e32 v29, v11, v27
	v_cmp_eq_u32_e64 s0, 3, v28
	v_lshl_or_b32 v23, v23, 9, 0x7c00
	v_cndmask_b32_e32 v20, 0x7c00, v20, vcc_lo
	v_cmp_lt_i32_e32 vcc_lo, 5, v28
	v_lshlrev_b32_e32 v11, v11, v29
	v_mul_f64 v[13:14], v[13:14], s[2:3]
	s_or_b32 vcc_lo, s0, vcc_lo
	v_cndmask_b32_e64 v20, v20, v23, s1
	v_add_co_ci_u32_e32 v22, vcc_lo, 0, v15, vcc_lo
	v_cmp_ne_u32_e32 vcc_lo, v11, v27
	v_cvt_f64_f32_e32 v[15:16], v8
	v_add_nc_u32_e32 v23, 0xfffffc10, v26
	v_cndmask_b32_e64 v8, 0, 1, vcc_lo
	v_cmp_ne_u32_e32 vcc_lo, 0, v21
	v_lshrrev_b32_e32 v21, 16, v10
	v_lshl_or_b32 v26, v23, 12, v24
	v_or_b32_e32 v8, v29, v8
	v_cndmask_b32_e64 v11, 0, 1, vcc_lo
	v_cmp_gt_i32_e32 vcc_lo, 31, v25
	v_and_or_b32 v20, 0x8000, v21, v20
	v_lshl_or_b32 v27, v11, 9, 0x7c00
	v_cndmask_b32_e32 v22, 0x7c00, v22, vcc_lo
	v_add_co_u32 v10, vcc_lo, v18, s5
	v_add_co_ci_u32_e32 v11, vcc_lo, s4, v19, vcc_lo
	v_cmp_gt_i32_e32 vcc_lo, 1, v23
	v_and_or_b32 v13, 0x1ff, v14, v13
	v_mul_f64 v[15:16], v[15:16], s[2:3]
	global_store_dword v[18:19], v0, off
	global_store_dword v[10:11], v2, off
	v_lshl_or_b32 v2, v20, 16, v5
	v_cndmask_b32_e32 v8, v26, v8, vcc_lo
	v_cmp_eq_u32_e32 vcc_lo, 0x40f, v25
	v_cmp_ne_u32_e64 s0, 0, v13
	v_lshrrev_b32_e32 v0, 16, v1
	v_lshrrev_b32_e32 v13, 8, v14
	v_bfe_u32 v19, v14, 20, 11
	v_cndmask_b32_e32 v21, v22, v27, vcc_lo
	v_lshrrev_b32_e32 v22, 16, v17
	v_and_b32_e32 v17, 7, v8
	v_cndmask_b32_e64 v5, 0, 1, s0
	v_lshrrev_b32_e32 v8, 2, v8
	v_mul_f16_sdwa v18, v74, v0 dst_sel:DWORD dst_unused:UNUSED_PAD src0_sel:WORD_1 src1_sel:DWORD
	v_and_or_b32 v21, 0x8000, v22, v21
	v_cmp_lt_i32_e32 vcc_lo, 5, v17
	v_cmp_eq_u32_e64 s0, 3, v17
	v_and_or_b32 v5, 0xffe, v13, v5
	v_sub_nc_u32_e32 v13, 0x3f1, v19
	v_fmac_f16_e32 v18, v74, v1
	v_add_nc_u32_e32 v19, 0xfffffc10, v19
	s_or_b32 vcc_lo, s0, vcc_lo
	v_or_b32_e32 v20, 0x1000, v5
	v_add_co_ci_u32_e32 v8, vcc_lo, 0, v8, vcc_lo
	v_cmp_ne_u32_e32 vcc_lo, 0, v24
	v_med3_i32 v13, v13, 0, 13
	v_and_or_b32 v15, 0x1ff, v16, v15
	v_cvt_f32_f16_e32 v17, v18
	v_lshrrev_b32_e32 v26, 8, v16
	v_cndmask_b32_e64 v24, 0, 1, vcc_lo
	v_cmp_gt_i32_e32 vcc_lo, 31, v23
	v_lshrrev_b32_e32 v25, v13, v20
	v_cvt_f64_f32_e32 v[17:18], v17
	v_bfe_u32 v27, v16, 20, 11
	v_lshl_or_b32 v24, v24, 9, 0x7c00
	v_cndmask_b32_e32 v8, 0x7c00, v8, vcc_lo
	v_cmp_ne_u32_e32 vcc_lo, 0, v15
	v_lshlrev_b32_e32 v13, v13, v25
	v_sub_nc_u32_e32 v22, 0x3f1, v27
	v_mul_f16_sdwa v1, v74, v1 dst_sel:DWORD dst_unused:UNUSED_PAD src0_sel:WORD_1 src1_sel:DWORD
	v_lshrrev_b32_e32 v14, 16, v14
	v_cndmask_b32_e64 v15, 0, 1, vcc_lo
	v_cmp_ne_u32_e32 vcc_lo, v13, v20
	v_med3_i32 v22, v22, 0, 13
	v_and_or_b32 v15, 0xffe, v26, v15
	v_cndmask_b32_e64 v13, 0, 1, vcc_lo
	v_cmp_eq_u32_e32 vcc_lo, 0x40f, v23
	v_lshrrev_b32_e32 v23, 16, v12
	v_or_b32_e32 v20, 0x1000, v15
	v_cndmask_b32_e32 v8, v8, v24, vcc_lo
	v_or_b32_e32 v24, v25, v13
	v_lshl_or_b32 v25, v19, 12, v5
	v_lshrrev_b32_e32 v26, v22, v20
	v_cmp_gt_i32_e32 vcc_lo, 1, v19
	v_mul_f64 v[12:13], v[17:18], s[2:3]
	v_and_b32_e32 v18, 0xffff, v21
	v_and_or_b32 v8, 0x8000, v23, v8
	v_lshlrev_b32_e32 v21, v22, v26
	v_cndmask_b32_e32 v17, v25, v24, vcc_lo
	v_fma_f16 v22, v74, v0, -v1
	v_add_co_u32 v0, vcc_lo, v10, s5
	v_cmp_ne_u32_e64 s0, v21, v20
	v_and_b32_e32 v23, 7, v17
	v_add_co_ci_u32_e32 v1, vcc_lo, s4, v11, vcc_lo
	v_cvt_f32_f16_e32 v10, v22
	v_cndmask_b32_e64 v20, 0, 1, s0
	v_cmp_lt_i32_e32 vcc_lo, 5, v23
	v_cmp_eq_u32_e64 s0, 3, v23
	v_lshrrev_b32_e32 v17, 2, v17
	v_cvt_f64_f32_e32 v[10:11], v10
	v_add_nc_u32_e32 v21, 0xfffffc10, v27
	v_or_b32_e32 v20, v26, v20
	s_or_b32 vcc_lo, s0, vcc_lo
	v_lshl_or_b32 v8, v8, 16, v18
	v_add_co_ci_u32_e32 v17, vcc_lo, 0, v17, vcc_lo
	v_cmp_ne_u32_e32 vcc_lo, 0, v5
	v_lshl_or_b32 v22, v21, 12, v15
	v_and_or_b32 v12, 0x1ff, v13, v12
	v_bfe_u32 v23, v13, 20, 11
	global_store_dword v[0:1], v2, off
	v_cndmask_b32_e64 v5, 0, 1, vcc_lo
	v_cmp_gt_i32_e32 vcc_lo, 1, v21
	v_lshl_or_b32 v5, v5, 9, 0x7c00
	v_cndmask_b32_e32 v20, v22, v20, vcc_lo
	v_cmp_gt_i32_e32 vcc_lo, 31, v19
	v_lshrrev_b32_e32 v22, 8, v13
	v_lshrrev_b32_e32 v13, 16, v13
	v_mul_f64 v[10:11], v[10:11], s[2:3]
	v_and_b32_e32 v18, 7, v20
	v_cndmask_b32_e32 v17, 0x7c00, v17, vcc_lo
	v_cmp_ne_u32_e32 vcc_lo, 0, v12
	v_cmp_eq_u32_e64 s0, 3, v18
	v_cndmask_b32_e64 v12, 0, 1, vcc_lo
	v_cmp_eq_u32_e32 vcc_lo, 0x40f, v19
	v_lshrrev_b32_e32 v19, 16, v4
	v_and_or_b32 v12, 0xffe, v22, v12
	v_cndmask_b32_e32 v5, v17, v5, vcc_lo
	v_cmp_lt_i32_e32 vcc_lo, 5, v18
	v_lshrrev_b32_e32 v18, 2, v20
	v_sub_nc_u32_e32 v17, 0x3f1, v23
	v_or_b32_e32 v20, 0x1000, v12
	v_mul_f16_sdwa v22, v73, v19 dst_sel:DWORD dst_unused:UNUSED_PAD src0_sel:WORD_1 src1_sel:DWORD
	s_or_b32 vcc_lo, s0, vcc_lo
	v_and_or_b32 v5, 0x8000, v14, v5
	v_add_co_ci_u32_e32 v18, vcc_lo, 0, v18, vcc_lo
	v_cmp_ne_u32_e32 vcc_lo, 0, v15
	v_med3_i32 v17, v17, 0, 13
	v_and_or_b32 v10, 0x1ff, v11, v10
	v_fmac_f16_e32 v22, v73, v4
	v_mul_f16_sdwa v4, v73, v4 dst_sel:DWORD dst_unused:UNUSED_PAD src0_sel:WORD_1 src1_sel:DWORD
	v_cndmask_b32_e64 v15, 0, 1, vcc_lo
	v_cmp_gt_i32_e32 vcc_lo, 31, v21
	v_lshrrev_b32_e32 v24, v17, v20
	v_cvt_f32_f16_e32 v22, v22
	v_and_b32_e32 v5, 0xffff, v5
	v_lshl_or_b32 v25, v15, 9, 0x7c00
	v_cndmask_b32_e32 v18, 0x7c00, v18, vcc_lo
	v_cmp_eq_u32_e32 vcc_lo, 0x40f, v21
	v_lshlrev_b32_e32 v17, v17, v24
	v_cvt_f64_f32_e32 v[14:15], v22
	v_lshrrev_b32_e32 v21, 8, v11
	v_bfe_u32 v22, v11, 20, 11
	v_cndmask_b32_e32 v18, v18, v25, vcc_lo
	v_cmp_ne_u32_e32 vcc_lo, 0, v10
	v_cndmask_b32_e64 v10, 0, 1, vcc_lo
	v_cmp_ne_u32_e32 vcc_lo, v17, v20
	v_add_nc_u32_e32 v20, 0xfffffc10, v23
	v_lshrrev_b32_e32 v23, 16, v16
	v_and_or_b32 v10, 0xffe, v21, v10
	v_cndmask_b32_e64 v17, 0, 1, vcc_lo
	v_add_co_u32 v16, vcc_lo, v0, s5
	v_sub_nc_u32_e32 v21, 0x3f1, v22
	v_lshl_or_b32 v25, v20, 12, v12
	v_or_b32_e32 v24, v24, v17
	v_add_co_ci_u32_e32 v17, vcc_lo, s4, v1, vcc_lo
	v_cmp_gt_i32_e32 vcc_lo, 1, v20
	v_or_b32_e32 v26, 0x1000, v10
	v_med3_i32 v21, v21, 0, 13
	v_and_or_b32 v18, 0x8000, v23, v18
	v_fma_f16 v0, v73, v19, -v4
	v_cndmask_b32_e32 v23, v25, v24, vcc_lo
	v_mul_f64 v[14:15], v[14:15], s[2:3]
	v_lshrrev_b32_e32 v24, v21, v26
	v_lshl_or_b32 v2, v18, 16, v5
	v_cvt_f32_f16_e32 v0, v0
	v_and_b32_e32 v1, 7, v23
	v_lshrrev_b32_e32 v5, 2, v23
	v_lshlrev_b32_e32 v4, v21, v24
	global_store_dword v[16:17], v8, off
	v_add_nc_u32_e32 v8, 0xfffffc10, v22
	v_cmp_lt_i32_e32 vcc_lo, 5, v1
	v_cmp_eq_u32_e64 s0, 3, v1
	v_cmp_ne_u32_e64 s1, v4, v26
	v_cvt_f64_f32_e32 v[0:1], v0
	v_lshl_or_b32 v21, v8, 12, v10
	s_or_b32 vcc_lo, s0, vcc_lo
	v_cndmask_b32_e64 v4, 0, 1, s1
	v_add_co_ci_u32_e32 v18, vcc_lo, 0, v5, vcc_lo
	v_cmp_ne_u32_e32 vcc_lo, 0, v12
	v_cmp_eq_u32_e64 s1, 0x40f, v20
	v_or_b32_e32 v19, v24, v4
	v_and_or_b32 v14, 0x1ff, v15, v14
	v_cndmask_b32_e64 v12, 0, 1, vcc_lo
	v_add_co_u32 v4, vcc_lo, v16, s5
	v_add_co_ci_u32_e32 v5, vcc_lo, s4, v17, vcc_lo
	v_cmp_gt_i32_e32 vcc_lo, 1, v8
	v_lshl_or_b32 v12, v12, 9, 0x7c00
	global_store_dword v[4:5], v2, off
	v_cndmask_b32_e32 v16, v21, v19, vcc_lo
	v_cmp_gt_i32_e32 vcc_lo, 31, v20
	v_bfe_u32 v19, v15, 20, 11
	v_mul_f64 v[0:1], v[0:1], s[2:3]
	v_and_b32_e32 v21, 7, v16
	v_cndmask_b32_e32 v17, 0x7c00, v18, vcc_lo
	v_cmp_ne_u32_e32 vcc_lo, 0, v14
	v_lshrrev_b32_e32 v18, 8, v15
	v_sub_nc_u32_e32 v22, 0x3f1, v19
	v_cmp_eq_u32_e64 s0, 3, v21
	v_lshrrev_b32_e32 v16, 2, v16
	v_cndmask_b32_e64 v14, 0, 1, vcc_lo
	v_cmp_lt_i32_e32 vcc_lo, 5, v21
	v_med3_i32 v22, v22, 0, 13
	v_cndmask_b32_e64 v12, v17, v12, s1
	v_add_nc_u32_e32 v19, 0xfffffc10, v19
	v_and_or_b32 v14, 0xffe, v18, v14
	v_lshrrev_b32_e32 v18, 16, v7
	s_or_b32 vcc_lo, s0, vcc_lo
	v_and_or_b32 v12, 0x8000, v13, v12
	v_add_co_ci_u32_e32 v16, vcc_lo, 0, v16, vcc_lo
	v_or_b32_e32 v21, 0x1000, v14
	v_mul_f16_sdwa v23, v72, v18 dst_sel:DWORD dst_unused:UNUSED_PAD src0_sel:WORD_1 src1_sel:DWORD
	v_cmp_ne_u32_e32 vcc_lo, 0, v10
	v_and_or_b32 v0, 0x1ff, v1, v0
	v_bfe_u32 v24, v1, 20, 11
	v_lshrrev_b32_e32 v20, v22, v21
	v_fmac_f16_e32 v23, v72, v7
	v_cndmask_b32_e64 v10, 0, 1, vcc_lo
	v_cmp_gt_i32_e32 vcc_lo, 31, v8
	v_mul_f16_sdwa v7, v72, v7 dst_sel:DWORD dst_unused:UNUSED_PAD src0_sel:WORD_1 src1_sel:DWORD
	v_lshlrev_b32_e32 v22, v22, v20
	v_cvt_f32_f16_e32 v17, v23
	v_lshl_or_b32 v10, v10, 9, 0x7c00
	v_cndmask_b32_e32 v23, 0x7c00, v16, vcc_lo
	v_and_b32_e32 v12, 0xffff, v12
	v_cmp_ne_u32_e32 vcc_lo, v22, v21
	v_cvt_f64_f32_e32 v[16:17], v17
	v_lshrrev_b32_e32 v22, 8, v1
	v_fma_f16 v2, v72, v18, -v7
	v_add_nc_u32_e32 v18, 0xfffffc10, v24
	v_cndmask_b32_e64 v21, 0, 1, vcc_lo
	v_cmp_ne_u32_e32 vcc_lo, 0, v0
	v_lshrrev_b32_e32 v15, 16, v15
	v_cvt_f32_f16_e32 v2, v2
	v_lshrrev_b32_e32 v1, 16, v1
	v_or_b32_e32 v20, v20, v21
	v_cndmask_b32_e64 v0, 0, 1, vcc_lo
	v_cmp_eq_u32_e32 vcc_lo, 0x40f, v8
	v_lshl_or_b32 v21, v19, 12, v14
	v_and_or_b32 v0, 0xffe, v22, v0
	v_sub_nc_u32_e32 v22, 0x3f1, v24
	v_cndmask_b32_e32 v8, v23, v10, vcc_lo
	v_cmp_gt_i32_e32 vcc_lo, 1, v19
	v_lshrrev_b32_e32 v23, 16, v11
	v_med3_i32 v22, v22, 0, 13
	v_mul_f64 v[10:11], v[16:17], s[2:3]
	v_cndmask_b32_e32 v20, v21, v20, vcc_lo
	v_or_b32_e32 v21, 0x1000, v0
	v_and_or_b32 v8, 0x8000, v23, v8
	v_and_b32_e32 v13, 7, v20
	v_lshrrev_b32_e32 v16, v22, v21
	v_lshl_or_b32 v17, v8, 16, v12
	v_lshrrev_b32_e32 v12, 2, v20
	v_cmp_lt_i32_e32 vcc_lo, 5, v13
	v_lshlrev_b32_e32 v7, v22, v16
	v_cmp_eq_u32_e64 s0, 3, v13
	v_cmp_ne_u32_e64 s1, v7, v21
	s_or_b32 vcc_lo, s0, vcc_lo
	v_cvt_f64_f32_e32 v[7:8], v2
	v_add_co_ci_u32_e32 v2, vcc_lo, 0, v12, vcc_lo
	v_cndmask_b32_e64 v13, 0, 1, s1
	v_cmp_ne_u32_e32 vcc_lo, 0, v14
	v_and_or_b32 v10, 0x1ff, v11, v10
	v_lshrrev_b32_e32 v21, 16, v3
	v_or_b32_e32 v12, v16, v13
	v_lshl_or_b32 v13, v18, 12, v0
	v_cndmask_b32_e64 v14, 0, 1, vcc_lo
	v_cmp_gt_i32_e32 vcc_lo, 1, v18
	v_bfe_u32 v16, v11, 20, 11
	v_mul_f16_sdwa v22, v71, v21 dst_sel:DWORD dst_unused:UNUSED_PAD src0_sel:WORD_1 src1_sel:DWORD
	v_lshl_or_b32 v14, v14, 9, 0x7c00
	v_cndmask_b32_e32 v12, v13, v12, vcc_lo
	v_cmp_ne_u32_e32 vcc_lo, 0, v10
	v_lshrrev_b32_e32 v13, 8, v11
	v_fmac_f16_e32 v22, v71, v3
	v_mul_f16_sdwa v3, v71, v3 dst_sel:DWORD dst_unused:UNUSED_PAD src0_sel:WORD_1 src1_sel:DWORD
	v_and_b32_e32 v20, 7, v12
	v_cndmask_b32_e64 v10, 0, 1, vcc_lo
	v_cmp_gt_i32_e32 vcc_lo, 31, v19
	v_lshrrev_b32_e32 v12, 2, v12
	v_cvt_f32_f16_e32 v22, v22
	v_cmp_eq_u32_e64 s0, 3, v20
	v_and_or_b32 v10, 0xffe, v13, v10
	v_sub_nc_u32_e32 v13, 0x3f1, v16
	v_cndmask_b32_e32 v2, 0x7c00, v2, vcc_lo
	v_cmp_lt_i32_e32 vcc_lo, 5, v20
	v_mul_f64 v[7:8], v[7:8], s[2:3]
	v_or_b32_e32 v23, 0x1000, v10
	v_med3_i32 v13, v13, 0, 13
	v_add_nc_u32_e32 v16, 0xfffffc10, v16
	s_or_b32 vcc_lo, s0, vcc_lo
	v_fma_f16 v3, v71, v21, -v3
	v_add_co_ci_u32_e32 v24, vcc_lo, 0, v12, vcc_lo
	v_lshrrev_b32_e32 v20, v13, v23
	v_add_co_u32 v4, vcc_lo, v4, s7
	v_add_co_ci_u32_e32 v5, vcc_lo, s6, v5, vcc_lo
	v_cmp_ne_u32_e32 vcc_lo, 0, v0
	v_lshlrev_b32_e32 v25, v13, v20
	v_cvt_f64_f32_e32 v[12:13], v22
	global_store_dword v[4:5], v17, off
	v_cvt_f32_f16_e32 v3, v3
	v_cndmask_b32_e64 v0, 0, 1, vcc_lo
	v_cmp_eq_u32_e32 vcc_lo, 0x40f, v19
	v_lshrrev_b32_e32 v21, 16, v6
	v_and_or_b32 v7, 0x1ff, v8, v7
	v_lshl_or_b32 v0, v0, 9, 0x7c00
	v_cndmask_b32_e32 v2, v2, v14, vcc_lo
	v_cmp_gt_i32_e32 vcc_lo, 31, v18
	v_mul_f16_sdwa v22, v70, v21 dst_sel:DWORD dst_unused:UNUSED_PAD src0_sel:WORD_1 src1_sel:DWORD
	v_and_or_b32 v2, 0x8000, v15, v2
	v_cndmask_b32_e32 v14, 0x7c00, v24, vcc_lo
	v_cmp_ne_u32_e32 vcc_lo, v25, v23
	v_fmac_f16_e32 v22, v70, v6
	v_mul_f16_sdwa v6, v70, v6 dst_sel:DWORD dst_unused:UNUSED_PAD src0_sel:WORD_1 src1_sel:DWORD
	v_and_b32_e32 v2, 0xffff, v2
	v_cndmask_b32_e64 v19, 0, 1, vcc_lo
	v_cmp_eq_u32_e32 vcc_lo, 0x40f, v18
	v_mul_f64 v[12:13], v[12:13], s[2:3]
	v_lshrrev_b32_e32 v18, 8, v8
	v_fma_f16 v6, v70, v21, -v6
	v_cndmask_b32_e32 v0, v14, v0, vcc_lo
	v_cmp_ne_u32_e32 vcc_lo, 0, v7
	v_or_b32_e32 v14, v20, v19
	v_bfe_u32 v19, v8, 20, 11
	v_lshl_or_b32 v20, v16, 12, v10
	v_and_or_b32 v0, 0x8000, v1, v0
	v_cndmask_b32_e64 v7, 0, 1, vcc_lo
	v_cmp_gt_i32_e32 vcc_lo, 1, v16
	v_sub_nc_u32_e32 v15, 0x3f1, v19
	v_lshrrev_b32_e32 v8, 16, v8
	v_lshl_or_b32 v2, v0, 16, v2
	v_and_or_b32 v7, 0xffe, v18, v7
	v_cndmask_b32_e32 v14, v20, v14, vcc_lo
	v_med3_i32 v1, v15, 0, 13
	v_add_co_u32 v0, s1, v4, s5
	v_or_b32_e32 v18, 0x1000, v7
	v_and_b32_e32 v15, 7, v14
	v_and_or_b32 v12, 0x1ff, v13, v12
	v_cvt_f64_f32_e32 v[3:4], v3
	v_bfe_u32 v20, v13, 20, 11
	v_lshrrev_b32_e32 v17, v1, v18
	v_cmp_lt_i32_e32 vcc_lo, 5, v15
	v_cmp_eq_u32_e64 s0, 3, v15
	v_lshlrev_b32_e32 v15, v1, v17
	v_add_co_ci_u32_e64 v1, s1, s4, v5, s1
	v_cmp_ne_u32_e64 s1, 0, v12
	v_lshrrev_b32_e32 v5, 2, v14
	v_lshrrev_b32_e32 v14, 8, v13
	s_or_b32 vcc_lo, s0, vcc_lo
	v_cndmask_b32_e64 v12, 0, 1, s1
	v_cmp_ne_u32_e64 s1, v15, v18
	v_add_nc_u32_e32 v18, 0xfffffc10, v19
	v_add_co_ci_u32_e32 v5, vcc_lo, 0, v5, vcc_lo
	v_and_or_b32 v12, 0xffe, v14, v12
	v_cndmask_b32_e64 v15, 0, 1, s1
	v_cmp_gt_i32_e32 vcc_lo, 1, v18
	v_sub_nc_u32_e32 v14, 0x3f1, v20
	v_mul_f64 v[3:4], v[3:4], s[2:3]
	v_or_b32_e32 v19, 0x1000, v12
	v_or_b32_e32 v15, v17, v15
	v_lshl_or_b32 v17, v18, 12, v7
	v_med3_i32 v14, v14, 0, 13
	v_cmp_eq_u32_e64 s1, 0x40f, v16
	v_add_nc_u32_e32 v20, 0xfffffc10, v20
	v_cndmask_b32_e32 v15, v17, v15, vcc_lo
	v_cmp_ne_u32_e32 vcc_lo, 0, v10
	v_lshrrev_b32_e32 v17, v14, v19
	v_and_b32_e32 v23, 7, v15
	v_cndmask_b32_e64 v10, 0, 1, vcc_lo
	v_cmp_gt_i32_e32 vcc_lo, 31, v16
	v_lshlrev_b32_e32 v14, v14, v17
	v_lshrrev_b32_e32 v16, 2, v15
	v_cmp_eq_u32_e64 s0, 3, v23
	v_lshl_or_b32 v10, v10, 9, 0x7c00
	v_cndmask_b32_e32 v5, 0x7c00, v5, vcc_lo
	v_cmp_lt_i32_e32 vcc_lo, 5, v23
	v_and_or_b32 v3, 0x1ff, v4, v3
	v_cndmask_b32_e64 v5, v5, v10, s1
	v_cvt_f32_f16_e32 v10, v22
	v_cmp_ne_u32_e64 s1, v14, v19
	s_or_b32 vcc_lo, s0, vcc_lo
	v_cvt_f64_f32_e32 v[14:15], v10
	v_add_co_ci_u32_e32 v10, vcc_lo, 0, v16, vcc_lo
	v_cndmask_b32_e64 v19, 0, 1, s1
	v_cmp_ne_u32_e32 vcc_lo, 0, v7
	v_or_b32_e32 v16, v17, v19
	v_lshl_or_b32 v17, v20, 12, v12
	v_cndmask_b32_e64 v7, 0, 1, vcc_lo
	v_cmp_gt_i32_e32 vcc_lo, 1, v20
	v_lshrrev_b32_e32 v19, 16, v11
	v_lshrrev_b32_e32 v11, 8, v4
	v_lshl_or_b32 v7, v7, 9, 0x7c00
	v_cndmask_b32_e32 v16, v17, v16, vcc_lo
	v_cmp_ne_u32_e32 vcc_lo, 0, v3
	v_bfe_u32 v17, v4, 20, 11
	v_and_or_b32 v5, 0x8000, v19, v5
	v_and_b32_e32 v23, 7, v16
	v_cndmask_b32_e64 v3, 0, 1, vcc_lo
	v_cmp_gt_i32_e32 vcc_lo, 31, v18
	v_sub_nc_u32_e32 v24, 0x3f1, v17
	v_and_b32_e32 v5, 0xffff, v5
	v_cmp_eq_u32_e64 s0, 3, v23
	v_and_or_b32 v3, 0xffe, v11, v3
	v_cndmask_b32_e32 v22, 0x7c00, v10, vcc_lo
	v_cmp_eq_u32_e32 vcc_lo, 0x40f, v18
	v_mul_f64 v[10:11], v[14:15], s[2:3]
	v_med3_i32 v15, v24, 0, 13
	v_or_b32_e32 v14, 0x1000, v3
	v_cndmask_b32_e32 v7, v22, v7, vcc_lo
	v_cmp_lt_i32_e32 vcc_lo, 5, v23
	v_lshrrev_b32_e32 v18, v15, v14
	v_and_or_b32 v7, 0x8000, v8, v7
	v_lshrrev_b32_e32 v8, 2, v16
	s_or_b32 vcc_lo, s0, vcc_lo
	v_lshlrev_b32_e32 v15, v15, v18
	v_lshl_or_b32 v16, v7, 16, v5
	v_add_co_ci_u32_e32 v8, vcc_lo, 0, v8, vcc_lo
	v_cmp_ne_u32_e32 vcc_lo, 0, v12
	v_cvt_f32_f16_e32 v5, v6
	v_cndmask_b32_e64 v12, 0, 1, vcc_lo
	v_cmp_ne_u32_e32 vcc_lo, v15, v14
	v_and_or_b32 v7, 0x1ff, v11, v10
	v_add_nc_u32_e32 v14, 0xfffffc10, v17
	v_lshrrev_b32_e32 v17, 8, v11
	v_bfe_u32 v19, v11, 20, 11
	v_cndmask_b32_e64 v10, 0, 1, vcc_lo
	v_cmp_gt_i32_e32 vcc_lo, 31, v20
	v_cvt_f64_f32_e32 v[5:6], v5
	v_lshrrev_b32_e32 v15, 16, v9
	v_lshl_or_b32 v12, v12, 9, 0x7c00
	v_or_b32_e32 v10, v18, v10
	v_cndmask_b32_e32 v8, 0x7c00, v8, vcc_lo
	v_cmp_ne_u32_e32 vcc_lo, 0, v7
	v_lshl_or_b32 v18, v14, 12, v3
	v_mul_f16_sdwa v21, v69, v15 dst_sel:DWORD dst_unused:UNUSED_PAD src0_sel:WORD_1 src1_sel:DWORD
	v_lshrrev_b32_e32 v11, 16, v11
	v_cndmask_b32_e64 v7, 0, 1, vcc_lo
	v_cmp_gt_i32_e32 vcc_lo, 1, v14
	v_fmac_f16_e32 v21, v69, v9
	v_mul_f16_sdwa v9, v69, v9 dst_sel:DWORD dst_unused:UNUSED_PAD src0_sel:WORD_1 src1_sel:DWORD
	v_and_or_b32 v17, 0xffe, v17, v7
	v_sub_nc_u32_e32 v7, 0x3f1, v19
	v_cndmask_b32_e32 v10, v18, v10, vcc_lo
	v_cmp_eq_u32_e32 vcc_lo, 0x40f, v20
	v_fma_f16 v9, v69, v15, -v9
	v_or_b32_e32 v18, 0x1000, v17
	v_med3_i32 v22, v7, 0, 13
	v_and_b32_e32 v23, 7, v10
	v_cndmask_b32_e32 v20, v8, v12, vcc_lo
	v_cvt_f32_f16_e32 v7, v21
	v_lshrrev_b32_e32 v10, 2, v10
	v_lshrrev_b32_e32 v12, v22, v18
	v_cmp_lt_i32_e32 vcc_lo, 5, v23
	v_cmp_eq_u32_e64 s0, 3, v23
	v_lshrrev_b32_e32 v21, 16, v13
	v_cvt_f64_f32_e32 v[7:8], v7
	v_lshlrev_b32_e32 v13, v22, v12
	v_mul_f64 v[5:6], v[5:6], s[2:3]
	s_or_b32 vcc_lo, s0, vcc_lo
	v_cvt_f32_f16_e32 v9, v9
	v_add_co_ci_u32_e32 v15, vcc_lo, 0, v10, vcc_lo
	v_cmp_ne_u32_e32 vcc_lo, v13, v18
	v_add_nc_u32_e32 v18, 0xfffffc10, v19
	v_and_or_b32 v20, 0x8000, v21, v20
	v_cndmask_b32_e64 v10, 0, 1, vcc_lo
	v_cmp_ne_u32_e32 vcc_lo, 0, v3
	v_lshl_or_b32 v22, v18, 12, v17
	v_and_b32_e32 v20, 0xffff, v20
	v_or_b32_e32 v19, v12, v10
	v_cndmask_b32_e64 v3, 0, 1, vcc_lo
	v_cmp_gt_i32_e32 vcc_lo, 31, v14
	v_cvt_f64_f32_e32 v[9:10], v9
	v_mul_f64 v[7:8], v[7:8], s[2:3]
	v_lshl_or_b32 v3, v3, 9, 0x7c00
	v_cndmask_b32_e32 v15, 0x7c00, v15, vcc_lo
	v_add_co_u32 v12, vcc_lo, v0, s5
	v_add_co_ci_u32_e32 v13, vcc_lo, s4, v1, vcc_lo
	v_cmp_gt_i32_e32 vcc_lo, 1, v18
	v_and_or_b32 v5, 0x1ff, v6, v5
	v_cndmask_b32_e32 v19, v22, v19, vcc_lo
	v_cmp_eq_u32_e32 vcc_lo, 0x40f, v14
	v_lshrrev_b32_e32 v22, 16, v4
	v_and_b32_e32 v23, 7, v19
	v_cndmask_b32_e32 v14, v15, v3, vcc_lo
	v_cmp_ne_u32_e32 vcc_lo, 0, v5
	v_lshrrev_b32_e32 v5, 8, v6
	v_bfe_u32 v15, v6, 20, 11
	v_cmp_eq_u32_e64 s0, 3, v23
	v_lshrrev_b32_e32 v19, 2, v19
	v_cndmask_b32_e64 v3, 0, 1, vcc_lo
	v_cmp_lt_i32_e32 vcc_lo, 5, v23
	v_sub_nc_u32_e32 v21, 0x3f1, v15
	v_and_or_b32 v7, 0x1ff, v8, v7
	v_bfe_u32 v23, v8, 20, 11
	v_and_or_b32 v5, 0xffe, v5, v3
	v_mul_f64 v[3:4], v[9:10], s[2:3]
	v_and_or_b32 v9, 0x8000, v22, v14
	v_med3_i32 v14, v21, 0, 13
	s_or_b32 vcc_lo, s0, vcc_lo
	v_or_b32_e32 v10, 0x1000, v5
	v_add_co_ci_u32_e32 v19, vcc_lo, 0, v19, vcc_lo
	v_cmp_ne_u32_e32 vcc_lo, 0, v7
	v_lshrrev_b32_e32 v22, 8, v8
	v_lshrrev_b32_e32 v21, v14, v10
	;; [unrolled: 1-line block ×4, first 2 shown]
	v_cndmask_b32_e64 v7, 0, 1, vcc_lo
	v_cmp_ne_u32_e32 vcc_lo, 0, v17
	v_lshlrev_b32_e32 v14, v14, v21
	v_lshl_or_b32 v9, v9, 16, v20
	v_and_or_b32 v7, 0xffe, v22, v7
	v_cndmask_b32_e64 v17, 0, 1, vcc_lo
	v_cmp_ne_u32_e32 vcc_lo, v14, v10
	v_sub_nc_u32_e32 v22, 0x3f1, v23
	v_add_nc_u32_e32 v14, 0xfffffc10, v15
	v_and_or_b32 v3, 0x1ff, v4, v3
	v_or_b32_e32 v15, 0x1000, v7
	v_cndmask_b32_e64 v10, 0, 1, vcc_lo
	v_cmp_gt_i32_e32 vcc_lo, 31, v18
	v_med3_i32 v22, v22, 0, 13
	v_lshrrev_b32_e32 v24, 8, v4
	v_bfe_u32 v25, v4, 20, 11
	v_or_b32_e32 v10, v21, v10
	v_cndmask_b32_e32 v19, 0x7c00, v19, vcc_lo
	v_cmp_ne_u32_e32 vcc_lo, 0, v3
	v_lshl_or_b32 v21, v14, 12, v5
	v_lshrrev_b32_e32 v26, v22, v15
	v_lshl_or_b32 v17, v17, 9, 0x7c00
	v_cndmask_b32_e64 v3, 0, 1, vcc_lo
	v_cmp_gt_i32_e32 vcc_lo, 1, v14
	v_and_or_b32 v3, 0xffe, v24, v3
	v_sub_nc_u32_e32 v24, 0x3f1, v25
	v_cndmask_b32_e32 v10, v21, v10, vcc_lo
	v_lshlrev_b32_e32 v21, v22, v26
	v_cmp_eq_u32_e32 vcc_lo, 0x40f, v18
	v_or_b32_e32 v22, 0x1000, v3
	v_med3_i32 v24, v24, 0, 13
	v_add_nc_u32_e32 v18, 0xfffffc10, v23
	v_and_b32_e32 v27, 7, v10
	v_cndmask_b32_e32 v17, v19, v17, vcc_lo
	v_cmp_ne_u32_e32 vcc_lo, v21, v15
	v_lshrrev_b32_e32 v19, v24, v22
	v_lshl_or_b32 v21, v18, 12, v7
	v_cmp_gt_i32_e64 s1, 1, v18
	v_cmp_eq_u32_e64 s0, 3, v27
	v_cndmask_b32_e64 v15, 0, 1, vcc_lo
	v_lshlrev_b32_e32 v23, v24, v19
	v_cmp_lt_i32_e32 vcc_lo, 5, v27
	v_lshrrev_b32_e32 v10, 2, v10
	v_and_or_b32 v11, 0x8000, v11, v17
	v_or_b32_e32 v15, v26, v15
	s_or_b32 vcc_lo, s0, vcc_lo
	v_add_co_ci_u32_e32 v10, vcc_lo, 0, v10, vcc_lo
	v_cndmask_b32_e64 v15, v21, v15, s1
	v_cmp_ne_u32_e64 s1, v23, v22
	v_add_nc_u32_e32 v22, 0xfffffc10, v25
	v_cmp_ne_u32_e32 vcc_lo, 0, v5
	v_and_b32_e32 v23, 7, v15
	v_cndmask_b32_e64 v21, 0, 1, s1
	v_cmp_gt_i32_e64 s0, 1, v22
	v_cndmask_b32_e64 v5, 0, 1, vcc_lo
	v_lshrrev_b32_e32 v15, 2, v15
	v_cmp_lt_i32_e32 vcc_lo, 5, v23
	v_or_b32_e32 v19, v19, v21
	v_lshl_or_b32 v21, v22, 12, v3
	v_cmp_gt_i32_e64 s1, 31, v14
	v_lshl_or_b32 v5, v5, 9, 0x7c00
	v_cndmask_b32_e64 v17, v21, v19, s0
	v_cmp_eq_u32_e64 s0, 3, v23
	v_cndmask_b32_e64 v10, 0x7c00, v10, s1
	v_cmp_eq_u32_e64 s1, 0x40f, v14
	v_and_b32_e32 v19, 7, v17
	s_or_b32 vcc_lo, s0, vcc_lo
	v_add_co_ci_u32_e32 v15, vcc_lo, 0, v15, vcc_lo
	v_cmp_ne_u32_e32 vcc_lo, 0, v7
	v_cmp_eq_u32_e64 s0, 3, v19
	v_cndmask_b32_e64 v5, v10, v5, s1
	v_lshrrev_b32_e32 v10, 2, v17
	v_cmp_gt_i32_e64 s1, 31, v18
	v_cndmask_b32_e64 v7, 0, 1, vcc_lo
	v_cmp_lt_i32_e32 vcc_lo, 5, v19
	v_and_or_b32 v5, 0x8000, v6, v5
	v_and_b32_e32 v6, 0xffff, v11
	v_cndmask_b32_e64 v14, 0x7c00, v15, s1
	v_lshl_or_b32 v7, v7, 9, 0x7c00
	s_or_b32 vcc_lo, s0, vcc_lo
	v_add_co_ci_u32_e32 v10, vcc_lo, 0, v10, vcc_lo
	v_cmp_ne_u32_e32 vcc_lo, 0, v3
	v_lshl_or_b32 v11, v5, 16, v6
	v_cndmask_b32_e64 v3, 0, 1, vcc_lo
	v_cmp_eq_u32_e32 vcc_lo, 0x40f, v18
	v_lshl_or_b32 v3, v3, 9, 0x7c00
	v_cndmask_b32_e32 v7, v14, v7, vcc_lo
	v_cmp_gt_i32_e32 vcc_lo, 31, v22
	v_and_or_b32 v7, 0x8000, v8, v7
	v_cndmask_b32_e32 v10, 0x7c00, v10, vcc_lo
	v_cmp_eq_u32_e32 vcc_lo, 0x40f, v22
	v_and_b32_e32 v7, 0xffff, v7
	v_cndmask_b32_e32 v8, v10, v3, vcc_lo
	v_lshrrev_b32_e32 v10, 16, v4
	v_add_co_u32 v3, vcc_lo, v12, s5
	v_add_co_ci_u32_e32 v4, vcc_lo, s4, v13, vcc_lo
	v_and_or_b32 v8, 0x8000, v10, v8
	v_add_co_u32 v5, vcc_lo, v3, s5
	v_add_co_ci_u32_e32 v6, vcc_lo, s4, v4, vcc_lo
	v_lshl_or_b32 v10, v8, 16, v7
	v_add_co_u32 v7, vcc_lo, v5, s5
	v_add_co_ci_u32_e32 v8, vcc_lo, s4, v6, vcc_lo
	global_store_dword v[0:1], v2, off
	global_store_dword v[12:13], v16, off
	;; [unrolled: 1-line block ×5, first 2 shown]
.LBB0_2:
	s_endpgm
	.section	.rodata,"a",@progbits
	.p2align	6, 0x0
	.amdhsa_kernel bluestein_single_fwd_len3456_dim1_half_op_CI_CI
		.amdhsa_group_segment_fixed_size 13824
		.amdhsa_private_segment_fixed_size 0
		.amdhsa_kernarg_size 104
		.amdhsa_user_sgpr_count 6
		.amdhsa_user_sgpr_private_segment_buffer 1
		.amdhsa_user_sgpr_dispatch_ptr 0
		.amdhsa_user_sgpr_queue_ptr 0
		.amdhsa_user_sgpr_kernarg_segment_ptr 1
		.amdhsa_user_sgpr_dispatch_id 0
		.amdhsa_user_sgpr_flat_scratch_init 0
		.amdhsa_user_sgpr_private_segment_size 0
		.amdhsa_wavefront_size32 1
		.amdhsa_uses_dynamic_stack 0
		.amdhsa_system_sgpr_private_segment_wavefront_offset 0
		.amdhsa_system_sgpr_workgroup_id_x 1
		.amdhsa_system_sgpr_workgroup_id_y 0
		.amdhsa_system_sgpr_workgroup_id_z 0
		.amdhsa_system_sgpr_workgroup_info 0
		.amdhsa_system_vgpr_workitem_id 0
		.amdhsa_next_free_vgpr 193
		.amdhsa_next_free_sgpr 20
		.amdhsa_reserve_vcc 1
		.amdhsa_reserve_flat_scratch 0
		.amdhsa_float_round_mode_32 0
		.amdhsa_float_round_mode_16_64 0
		.amdhsa_float_denorm_mode_32 3
		.amdhsa_float_denorm_mode_16_64 3
		.amdhsa_dx10_clamp 1
		.amdhsa_ieee_mode 1
		.amdhsa_fp16_overflow 0
		.amdhsa_workgroup_processor_mode 1
		.amdhsa_memory_ordered 1
		.amdhsa_forward_progress 0
		.amdhsa_shared_vgpr_count 0
		.amdhsa_exception_fp_ieee_invalid_op 0
		.amdhsa_exception_fp_denorm_src 0
		.amdhsa_exception_fp_ieee_div_zero 0
		.amdhsa_exception_fp_ieee_overflow 0
		.amdhsa_exception_fp_ieee_underflow 0
		.amdhsa_exception_fp_ieee_inexact 0
		.amdhsa_exception_int_div_zero 0
	.end_amdhsa_kernel
	.text
.Lfunc_end0:
	.size	bluestein_single_fwd_len3456_dim1_half_op_CI_CI, .Lfunc_end0-bluestein_single_fwd_len3456_dim1_half_op_CI_CI
                                        ; -- End function
	.section	.AMDGPU.csdata,"",@progbits
; Kernel info:
; codeLenInByte = 36504
; NumSgprs: 22
; NumVgprs: 193
; ScratchSize: 0
; MemoryBound: 0
; FloatMode: 240
; IeeeMode: 1
; LDSByteSize: 13824 bytes/workgroup (compile time only)
; SGPRBlocks: 2
; VGPRBlocks: 24
; NumSGPRsForWavesPerEU: 22
; NumVGPRsForWavesPerEU: 193
; Occupancy: 4
; WaveLimiterHint : 1
; COMPUTE_PGM_RSRC2:SCRATCH_EN: 0
; COMPUTE_PGM_RSRC2:USER_SGPR: 6
; COMPUTE_PGM_RSRC2:TRAP_HANDLER: 0
; COMPUTE_PGM_RSRC2:TGID_X_EN: 1
; COMPUTE_PGM_RSRC2:TGID_Y_EN: 0
; COMPUTE_PGM_RSRC2:TGID_Z_EN: 0
; COMPUTE_PGM_RSRC2:TIDIG_COMP_CNT: 0
	.text
	.p2alignl 6, 3214868480
	.fill 48, 4, 3214868480
	.type	__hip_cuid_53451a183d429f0e,@object ; @__hip_cuid_53451a183d429f0e
	.section	.bss,"aw",@nobits
	.globl	__hip_cuid_53451a183d429f0e
__hip_cuid_53451a183d429f0e:
	.byte	0                               ; 0x0
	.size	__hip_cuid_53451a183d429f0e, 1

	.ident	"AMD clang version 19.0.0git (https://github.com/RadeonOpenCompute/llvm-project roc-6.4.0 25133 c7fe45cf4b819c5991fe208aaa96edf142730f1d)"
	.section	".note.GNU-stack","",@progbits
	.addrsig
	.addrsig_sym __hip_cuid_53451a183d429f0e
	.amdgpu_metadata
---
amdhsa.kernels:
  - .args:
      - .actual_access:  read_only
        .address_space:  global
        .offset:         0
        .size:           8
        .value_kind:     global_buffer
      - .actual_access:  read_only
        .address_space:  global
        .offset:         8
        .size:           8
        .value_kind:     global_buffer
      - .actual_access:  read_only
        .address_space:  global
        .offset:         16
        .size:           8
        .value_kind:     global_buffer
      - .actual_access:  read_only
        .address_space:  global
        .offset:         24
        .size:           8
        .value_kind:     global_buffer
      - .actual_access:  read_only
        .address_space:  global
        .offset:         32
        .size:           8
        .value_kind:     global_buffer
      - .offset:         40
        .size:           8
        .value_kind:     by_value
      - .address_space:  global
        .offset:         48
        .size:           8
        .value_kind:     global_buffer
      - .address_space:  global
        .offset:         56
        .size:           8
        .value_kind:     global_buffer
      - .address_space:  global
        .offset:         64
        .size:           8
        .value_kind:     global_buffer
      - .address_space:  global
        .offset:         72
        .size:           8
        .value_kind:     global_buffer
      - .offset:         80
        .size:           4
        .value_kind:     by_value
      - .address_space:  global
        .offset:         88
        .size:           8
        .value_kind:     global_buffer
      - .address_space:  global
        .offset:         96
        .size:           8
        .value_kind:     global_buffer
    .group_segment_fixed_size: 13824
    .kernarg_segment_align: 8
    .kernarg_segment_size: 104
    .language:       OpenCL C
    .language_version:
      - 2
      - 0
    .max_flat_workgroup_size: 144
    .name:           bluestein_single_fwd_len3456_dim1_half_op_CI_CI
    .private_segment_fixed_size: 0
    .sgpr_count:     22
    .sgpr_spill_count: 0
    .symbol:         bluestein_single_fwd_len3456_dim1_half_op_CI_CI.kd
    .uniform_work_group_size: 1
    .uses_dynamic_stack: false
    .vgpr_count:     193
    .vgpr_spill_count: 0
    .wavefront_size: 32
    .workgroup_processor_mode: 1
amdhsa.target:   amdgcn-amd-amdhsa--gfx1030
amdhsa.version:
  - 1
  - 2
...

	.end_amdgpu_metadata
